;; amdgpu-corpus repo=ROCm/rocFFT kind=compiled arch=gfx1201 opt=O3
	.text
	.amdgcn_target "amdgcn-amd-amdhsa--gfx1201"
	.amdhsa_code_object_version 6
	.protected	bluestein_single_back_len825_dim1_sp_op_CI_CI ; -- Begin function bluestein_single_back_len825_dim1_sp_op_CI_CI
	.globl	bluestein_single_back_len825_dim1_sp_op_CI_CI
	.p2align	8
	.type	bluestein_single_back_len825_dim1_sp_op_CI_CI,@function
bluestein_single_back_len825_dim1_sp_op_CI_CI: ; @bluestein_single_back_len825_dim1_sp_op_CI_CI
; %bb.0:
	s_load_b128 s[12:15], s[0:1], 0x28
	v_mul_u32_u24_e32 v1, 0x4a8, v0
	s_mov_b32 s2, exec_lo
	v_mov_b32_e32 v108, 0
	s_delay_alu instid0(VALU_DEP_2) | instskip(NEXT) | instid1(VALU_DEP_1)
	v_lshrrev_b32_e32 v1, 16, v1
	v_add_nc_u32_e32 v107, ttmp9, v1
	s_wait_kmcnt 0x0
	s_delay_alu instid0(VALU_DEP_1)
	v_cmpx_gt_u64_e64 s[12:13], v[107:108]
	s_cbranch_execz .LBB0_15
; %bb.1:
	s_clause 0x1
	s_load_b128 s[4:7], s[0:1], 0x18
	s_load_b64 s[12:13], s[0:1], 0x0
	v_mul_lo_u16 v1, v1, 55
	s_delay_alu instid0(VALU_DEP_1) | instskip(NEXT) | instid1(VALU_DEP_1)
	v_sub_nc_u16 v32, v0, v1
	v_and_b32_e32 v133, 0xffff, v32
	s_delay_alu instid0(VALU_DEP_1)
	v_lshlrev_b32_e32 v132, 3, v133
	s_wait_kmcnt 0x0
	s_load_b128 s[8:11], s[4:5], 0x0
	s_clause 0x8
	global_load_b64 v[128:129], v132, s[12:13]
	global_load_b64 v[126:127], v132, s[12:13] offset:600
	global_load_b64 v[120:121], v132, s[12:13] offset:1200
	;; [unrolled: 1-line block ×8, first 2 shown]
	s_wait_kmcnt 0x0
	v_mad_co_u64_u32 v[0:1], null, s10, v107, 0
	v_mad_co_u64_u32 v[2:3], null, s8, v133, 0
	s_mul_u64 s[2:3], s[8:9], 0x4b
	s_delay_alu instid0(VALU_DEP_1) | instskip(NEXT) | instid1(VALU_DEP_1)
	v_mad_co_u64_u32 v[4:5], null, s11, v107, v[1:2]
	v_mad_co_u64_u32 v[5:6], null, s9, v133, v[3:4]
	v_mov_b32_e32 v1, v4
	s_delay_alu instid0(VALU_DEP_1) | instskip(NEXT) | instid1(VALU_DEP_3)
	v_lshlrev_b64_e32 v[0:1], 3, v[0:1]
	v_mov_b32_e32 v3, v5
	s_delay_alu instid0(VALU_DEP_2) | instskip(NEXT) | instid1(VALU_DEP_2)
	v_add_co_u32 v0, vcc_lo, s14, v0
	v_lshlrev_b64_e32 v[2:3], 3, v[2:3]
	s_delay_alu instid0(VALU_DEP_4) | instskip(SKIP_2) | instid1(VALU_DEP_3)
	v_add_co_ci_u32_e32 v1, vcc_lo, s15, v1, vcc_lo
	s_lshl_b64 s[14:15], s[2:3], 3
	v_add_co_u32 v105, s2, s12, v132
	v_add_co_u32 v0, vcc_lo, v0, v2
	s_wait_alu 0xfffd
	v_add_co_ci_u32_e32 v1, vcc_lo, v1, v3, vcc_lo
	v_add_co_ci_u32_e64 v106, null, s13, 0, s2
	s_wait_alu 0xfffe
	v_add_co_u32 v2, vcc_lo, v0, s14
	s_wait_alu 0xfffd
	v_add_co_ci_u32_e32 v3, vcc_lo, s15, v1, vcc_lo
	s_clause 0x1
	global_load_b64 v[8:9], v[0:1], off
	global_load_b64 v[10:11], v[2:3], off
	v_add_co_u32 v4, vcc_lo, v2, s14
	s_wait_alu 0xfffd
	v_add_co_ci_u32_e32 v5, vcc_lo, s15, v3, vcc_lo
	s_delay_alu instid0(VALU_DEP_2) | instskip(SKIP_1) | instid1(VALU_DEP_2)
	v_add_co_u32 v6, vcc_lo, v4, s14
	s_wait_alu 0xfffd
	v_add_co_ci_u32_e32 v7, vcc_lo, s15, v5, vcc_lo
	s_delay_alu instid0(VALU_DEP_2) | instskip(SKIP_1) | instid1(VALU_DEP_2)
	v_add_co_u32 v0, vcc_lo, v6, s14
	s_wait_alu 0xfffd
	v_add_co_ci_u32_e32 v1, vcc_lo, s15, v7, vcc_lo
	s_clause 0x1
	global_load_b64 v[12:13], v[4:5], off
	global_load_b64 v[6:7], v[6:7], off
	v_add_co_u32 v2, vcc_lo, v0, s14
	s_wait_alu 0xfffd
	v_add_co_ci_u32_e32 v3, vcc_lo, s15, v1, vcc_lo
	global_load_b64 v[14:15], v[0:1], off
	v_add_co_u32 v0, vcc_lo, v2, s14
	s_wait_alu 0xfffd
	v_add_co_ci_u32_e32 v1, vcc_lo, s15, v3, vcc_lo
	;; [unrolled: 4-line block ×6, first 2 shown]
	global_load_b64 v[24:25], v[2:3], off
	s_clause 0x1
	global_load_b64 v[122:123], v132, s[12:13] offset:5400
	global_load_b64 v[124:125], v132, s[12:13] offset:6000
	global_load_b64 v[26:27], v[0:1], off
	v_add_nc_u32_e32 v2, 0x800, v132
	v_add_nc_u32_e32 v4, 0x1000, v132
	s_load_b64 s[10:11], s[0:1], 0x38
	s_load_b128 s[4:7], s[6:7], 0x0
	v_cmp_gt_u16_e32 vcc_lo, 20, v32
	s_wait_loadcnt 0xc
	v_mul_f32_e32 v28, v9, v129
	s_wait_loadcnt 0xb
	v_dual_mul_f32 v3, v8, v129 :: v_dual_mul_f32 v30, v11, v127
	v_add_nc_u32_e32 v5, 0xc00, v132
	s_delay_alu instid0(VALU_DEP_3) | instskip(NEXT) | instid1(VALU_DEP_3)
	v_fmac_f32_e32 v28, v8, v128
	v_fma_f32 v29, v9, v128, -v3
	v_mul_f32_e32 v3, v10, v127
	v_fmac_f32_e32 v30, v10, v126
	s_delay_alu instid0(VALU_DEP_2)
	v_fma_f32 v31, v11, v126, -v3
	s_wait_loadcnt 0xa
	v_mul_f32_e32 v8, v13, v121
	s_wait_loadcnt 0x9
	v_dual_mul_f32 v9, v12, v121 :: v_dual_mul_f32 v10, v7, v111
	v_mul_f32_e32 v33, v6, v111
	ds_store_2addr_b64 v132, v[28:29], v[30:31] offset1:75
	s_wait_loadcnt 0x8
	v_dual_fmac_f32 v8, v12, v120 :: v_dual_mul_f32 v3, v14, v117
	v_fma_f32 v9, v13, v120, -v9
	v_fmac_f32_e32 v10, v6, v110
	v_fma_f32 v11, v7, v110, -v33
	v_mul_f32_e32 v6, v15, v117
	s_wait_loadcnt 0x7
	v_mul_f32_e32 v12, v17, v119
	v_fma_f32 v7, v15, v116, -v3
	ds_store_2addr_b64 v132, v[8:9], v[10:11] offset0:150 offset1:225
	v_mul_f32_e32 v9, v16, v119
	s_wait_loadcnt 0x6
	v_mul_f32_e32 v3, v18, v109
	v_mul_f32_e32 v8, v19, v109
	v_fmac_f32_e32 v12, v16, v118
	v_fma_f32 v13, v17, v118, -v9
	s_wait_loadcnt 0x5
	v_mul_f32_e32 v10, v21, v113
	v_mul_f32_e32 v11, v20, v113
	v_fma_f32 v9, v19, v108, -v3
	v_fmac_f32_e32 v8, v18, v108
	s_wait_loadcnt 0x4
	v_mul_f32_e32 v3, v22, v115
	v_fmac_f32_e32 v6, v14, v116
	v_mul_f32_e32 v14, v23, v115
	s_wait_loadcnt 0x2
	v_mul_f32_e32 v17, v24, v123
	v_mul_f32_e32 v16, v25, v123
	s_wait_loadcnt 0x0
	v_mul_f32_e32 v18, v27, v125
	v_dual_mul_f32 v19, v26, v125 :: v_dual_fmac_f32 v10, v20, v112
	v_fma_f32 v11, v21, v112, -v11
	v_fmac_f32_e32 v14, v22, v114
	v_fma_f32 v15, v23, v114, -v3
	v_fmac_f32_e32 v16, v24, v122
	;; [unrolled: 2-line block ×3, first 2 shown]
	v_fma_f32 v19, v27, v124, -v19
	ds_store_2addr_b64 v2, v[6:7], v[12:13] offset0:44 offset1:119
	ds_store_2addr_b64 v5, v[8:9], v[10:11] offset0:66 offset1:141
	;; [unrolled: 1-line block ×3, first 2 shown]
	ds_store_b64 v132, v[18:19] offset:6000
	s_and_saveexec_b32 s3, vcc_lo
	s_cbranch_execz .LBB0_3
; %bb.2:
	v_mad_co_u64_u32 v[0:1], null, 0xffffea48, s8, v[0:1]
	s_mul_i32 s2, s9, 0xffffea48
	s_clause 0x3
	global_load_b64 v[6:7], v[105:106], off offset:440
	global_load_b64 v[8:9], v[105:106], off offset:1040
	;; [unrolled: 1-line block ×4, first 2 shown]
	s_wait_alu 0xfffe
	s_sub_co_i32 s2, s2, s8
	s_clause 0x1
	global_load_b64 v[16:17], v[105:106], off offset:2840
	global_load_b64 v[18:19], v[105:106], off offset:3440
	s_wait_alu 0xfffe
	v_add_nc_u32_e32 v1, s2, v1
	v_add_co_u32 v14, s2, v0, s14
	s_wait_alu 0xf1ff
	s_delay_alu instid0(VALU_DEP_2) | instskip(NEXT) | instid1(VALU_DEP_2)
	v_add_co_ci_u32_e64 v15, s2, s15, v1, s2
	v_add_co_u32 v20, s2, v14, s14
	global_load_b64 v[0:1], v[0:1], off
	s_wait_alu 0xf1ff
	v_add_co_ci_u32_e64 v21, s2, s15, v15, s2
	v_add_co_u32 v22, s2, v20, s14
	global_load_b64 v[14:15], v[14:15], off
	s_wait_alu 0xf1ff
	;; [unrolled: 4-line block ×6, first 2 shown]
	v_add_co_ci_u32_e64 v31, s2, s15, v29, s2
	v_add_co_u32 v32, s2, v30, s14
	s_wait_alu 0xf1ff
	s_delay_alu instid0(VALU_DEP_2)
	v_add_co_ci_u32_e64 v33, s2, s15, v31, s2
	s_clause 0x1
	global_load_b64 v[34:35], v[105:106], off offset:4040
	global_load_b64 v[36:37], v[105:106], off offset:4640
	global_load_b64 v[28:29], v[28:29], off
	global_load_b64 v[30:31], v[30:31], off
	;; [unrolled: 1-line block ×3, first 2 shown]
	v_add_co_u32 v32, s2, v32, s14
	s_wait_alu 0xf1ff
	v_add_co_ci_u32_e64 v33, s2, s15, v33, s2
	global_load_b64 v[40:41], v[105:106], off offset:5240
	v_add_co_u32 v42, s2, v32, s14
	s_wait_alu 0xf1ff
	v_add_co_ci_u32_e64 v43, s2, s15, v33, s2
	global_load_b64 v[32:33], v[32:33], off
	s_clause 0x1
	global_load_b64 v[44:45], v[105:106], off offset:5840
	global_load_b64 v[46:47], v[105:106], off offset:6440
	global_load_b64 v[42:43], v[42:43], off
	s_wait_loadcnt 0xf
	v_mul_f32_e32 v48, v1, v7
	v_mul_f32_e32 v3, v0, v7
	s_wait_loadcnt 0xe
	v_mul_f32_e32 v7, v15, v9
	s_delay_alu instid0(VALU_DEP_3) | instskip(NEXT) | instid1(VALU_DEP_3)
	v_dual_mul_f32 v9, v14, v9 :: v_dual_fmac_f32 v48, v0, v6
	v_fma_f32 v49, v1, v6, -v3
	s_wait_loadcnt 0xd
	v_dual_mul_f32 v0, v21, v11 :: v_dual_add_nc_u32 v3, 0x400, v132
	v_fmac_f32_e32 v7, v14, v8
	v_fma_f32 v8, v15, v8, -v9
	s_delay_alu instid0(VALU_DEP_3)
	v_fmac_f32_e32 v0, v20, v10
	s_wait_loadcnt 0xc
	v_dual_mul_f32 v6, v23, v13 :: v_dual_mul_f32 v1, v20, v11
	ds_store_2addr_b64 v132, v[48:49], v[7:8] offset0:55 offset1:130
	v_mul_f32_e32 v7, v22, v13
	s_wait_loadcnt 0xb
	v_mul_f32_e32 v8, v25, v17
	v_fmac_f32_e32 v6, v22, v12
	v_fma_f32 v1, v21, v10, -v1
	s_wait_loadcnt 0xa
	v_dual_mul_f32 v10, v27, v19 :: v_dual_mul_f32 v9, v24, v17
	v_fma_f32 v7, v23, v12, -v7
	v_dual_mul_f32 v11, v26, v19 :: v_dual_fmac_f32 v8, v24, v16
	s_delay_alu instid0(VALU_DEP_3)
	v_fmac_f32_e32 v10, v26, v18
	s_wait_loadcnt 0x6
	v_dual_mul_f32 v12, v29, v35 :: v_dual_mul_f32 v15, v30, v37
	v_dual_mul_f32 v13, v28, v35 :: v_dual_mul_f32 v14, v31, v37
	v_fma_f32 v9, v25, v16, -v9
	v_fma_f32 v11, v27, v18, -v11
	s_wait_loadcnt 0x4
	v_dual_fmac_f32 v12, v28, v34 :: v_dual_mul_f32 v17, v38, v41
	v_mul_f32_e32 v16, v39, v41
	s_wait_loadcnt 0x2
	v_dual_fmac_f32 v14, v30, v36 :: v_dual_mul_f32 v19, v32, v45
	v_mul_f32_e32 v18, v33, v45
	s_wait_loadcnt 0x0
	v_mul_f32_e32 v20, v43, v47
	v_mul_f32_e32 v21, v42, v47
	v_fma_f32 v13, v29, v34, -v13
	v_fma_f32 v15, v31, v36, -v15
	v_fmac_f32_e32 v16, v38, v40
	v_fma_f32 v17, v39, v40, -v17
	v_fmac_f32_e32 v18, v32, v44
	;; [unrolled: 2-line block ×3, first 2 shown]
	v_fma_f32 v21, v43, v46, -v21
	ds_store_2addr_b64 v3, v[0:1], v[6:7] offset0:77 offset1:152
	ds_store_2addr_b64 v2, v[8:9], v[10:11] offset0:99 offset1:174
	ds_store_2addr_b64 v5, v[12:13], v[14:15] offset0:121 offset1:196
	ds_store_2addr_b64 v4, v[16:17], v[18:19] offset0:143 offset1:218
	ds_store_b64 v132, v[20:21] offset:6440
.LBB0_3:
	s_wait_alu 0xfffe
	s_or_b32 exec_lo, exec_lo, s3
	global_wb scope:SCOPE_SE
	s_wait_dscnt 0x0
	s_wait_kmcnt 0x0
	s_barrier_signal -1
	s_barrier_wait -1
	global_inv scope:SCOPE_SE
	ds_load_2addr_b64 v[36:39], v132 offset1:75
	ds_load_2addr_b64 v[12:15], v132 offset0:150 offset1:225
	ds_load_2addr_b64 v[0:3], v2 offset0:44 offset1:119
	;; [unrolled: 1-line block ×4, first 2 shown]
	ds_load_b64 v[42:43], v132 offset:6000
	s_load_b64 s[2:3], s[0:1], 0x8
	v_mov_b32_e32 v20, 0
	v_mov_b32_e32 v21, 0
                                        ; implicit-def: $vgpr16
                                        ; implicit-def: $vgpr4
                                        ; implicit-def: $vgpr40
                                        ; implicit-def: $vgpr26
                                        ; implicit-def: $vgpr30
	s_and_saveexec_b32 s0, vcc_lo
	s_cbranch_execz .LBB0_5
; %bb.4:
	v_add_nc_u32_e32 v4, 0x400, v132
	v_add_nc_u32_e32 v5, 0x800, v132
	;; [unrolled: 1-line block ×4, first 2 shown]
	ds_load_2addr_b64 v[20:23], v132 offset0:55 offset1:130
	ds_load_2addr_b64 v[28:31], v4 offset0:77 offset1:152
	ds_load_2addr_b64 v[24:27], v5 offset0:99 offset1:174
	ds_load_2addr_b64 v[16:19], v6 offset0:121 offset1:196
	ds_load_2addr_b64 v[4:7], v7 offset0:143 offset1:218
	ds_load_b64 v[40:41], v132 offset:6440
.LBB0_5:
	s_wait_alu 0xfffe
	s_or_b32 exec_lo, exec_lo, s0
	s_wait_dscnt 0x5
	v_dual_add_f32 v44, v36, v38 :: v_dual_add_f32 v45, v37, v39
	v_add_co_u32 v52, s0, v133, 55
	s_wait_alu 0xf1ff
	v_add_co_ci_u32_e64 v46, null, 0, 0, s0
	s_wait_dscnt 0x4
	v_dual_add_f32 v44, v44, v12 :: v_dual_add_f32 v45, v45, v13
	s_wait_dscnt 0x0
	v_add_f32_e32 v46, v42, v38
	v_dual_sub_f32 v48, v38, v42 :: v_dual_add_f32 v49, v43, v39
	s_delay_alu instid0(VALU_DEP_3) | instskip(SKIP_2) | instid1(VALU_DEP_4)
	v_dual_add_f32 v44, v44, v14 :: v_dual_sub_f32 v47, v39, v43
	v_add_f32_e32 v45, v45, v15
	v_sub_f32_e32 v99, v27, v17
	v_mul_f32_e32 v51, 0xbf68dda4, v48
	s_delay_alu instid0(VALU_DEP_4) | instskip(NEXT) | instid1(VALU_DEP_4)
	v_add_f32_e32 v38, v44, v0
	v_dual_mul_f32 v44, 0xbf0a6770, v47 :: v_dual_add_f32 v39, v45, v1
	v_mul_f32_e32 v45, 0xbf0a6770, v48
	v_mul_f32_e32 v50, 0xbf68dda4, v47
	s_delay_alu instid0(VALU_DEP_4) | instskip(NEXT) | instid1(VALU_DEP_4)
	v_add_f32_e32 v38, v38, v2
	v_fma_f32 v54, 0x3f575c64, v46, -v44
	v_add_f32_e32 v39, v39, v3
	v_mul_f32_e32 v53, 0xbf7d64f0, v47
	v_fmac_f32_e32 v44, 0x3f575c64, v46
	v_dual_add_f32 v38, v38, v8 :: v_dual_fmamk_f32 v55, v49, 0x3f575c64, v45
	s_delay_alu instid0(VALU_DEP_4) | instskip(SKIP_2) | instid1(VALU_DEP_4)
	v_add_f32_e32 v39, v39, v9
	v_fma_f32 v56, 0x3ed4b147, v46, -v50
	v_fmac_f32_e32 v50, 0x3ed4b147, v46
	v_dual_add_f32 v38, v38, v10 :: v_dual_fmamk_f32 v57, v49, 0x3ed4b147, v51
	s_delay_alu instid0(VALU_DEP_4) | instskip(SKIP_2) | instid1(VALU_DEP_4)
	v_add_f32_e32 v39, v39, v11
	v_fma_f32 v51, 0x3ed4b147, v49, -v51
	v_add_f32_e32 v54, v36, v54
	v_dual_add_f32 v38, v38, v32 :: v_dual_add_f32 v55, v37, v55
	s_delay_alu instid0(VALU_DEP_4) | instskip(NEXT) | instid1(VALU_DEP_4)
	v_add_f32_e32 v39, v39, v33
	v_dual_add_f32 v51, v37, v51 :: v_dual_mul_f32 v60, 0xbf4178ce, v48
	s_delay_alu instid0(VALU_DEP_3) | instskip(NEXT) | instid1(VALU_DEP_3)
	v_add_f32_e32 v38, v38, v34
	v_dual_add_f32 v44, v36, v44 :: v_dual_add_f32 v39, v39, v35
	v_fma_f32 v45, 0x3f575c64, v49, -v45
	v_add_f32_e32 v50, v36, v50
	s_delay_alu instid0(VALU_DEP_4) | instskip(SKIP_4) | instid1(VALU_DEP_4)
	v_add_f32_e32 v38, v38, v42
	v_fma_f32 v42, 0xbe11bafb, v46, -v53
	v_add_f32_e32 v39, v39, v43
	v_mul_f32_e32 v43, 0xbf7d64f0, v48
	v_dual_fmac_f32 v53, 0xbe11bafb, v46 :: v_dual_sub_f32 v64, v13, v35
	v_dual_add_f32 v57, v37, v57 :: v_dual_add_f32 v42, v36, v42
	s_delay_alu instid0(VALU_DEP_2) | instskip(SKIP_3) | instid1(VALU_DEP_4)
	v_dual_fmamk_f32 v58, v49, 0xbe11bafb, v43 :: v_dual_add_f32 v53, v36, v53
	v_mul_f32_e32 v59, 0xbf4178ce, v47
	v_fma_f32 v43, 0xbe11bafb, v49, -v43
	v_mul_f32_e32 v48, 0xbe903f40, v48
	v_add_f32_e32 v58, v37, v58
	v_add_f32_e32 v66, v34, v12
	v_fma_f32 v61, 0xbf27a4f4, v46, -v59
	v_fmamk_f32 v62, v49, 0xbf27a4f4, v60
	v_add_f32_e32 v43, v37, v43
	v_fma_f32 v60, 0xbf27a4f4, v49, -v60
	v_fmac_f32_e32 v59, 0xbf27a4f4, v46
	v_add_f32_e32 v61, v36, v61
	v_dual_mul_f32 v47, 0xbe903f40, v47 :: v_dual_add_f32 v62, v37, v62
	s_delay_alu instid0(VALU_DEP_3) | instskip(SKIP_2) | instid1(VALU_DEP_4)
	v_dual_add_f32 v60, v37, v60 :: v_dual_add_f32 v59, v36, v59
	v_dual_fmamk_f32 v65, v49, 0xbf75a155, v48 :: v_dual_sub_f32 v12, v12, v34
	v_mul_f32_e32 v67, 0xbf68dda4, v64
	v_fma_f32 v63, 0xbf75a155, v46, -v47
	v_fma_f32 v34, 0xbf75a155, v49, -v48
	s_delay_alu instid0(VALU_DEP_4)
	v_add_f32_e32 v48, v37, v65
	v_add_f32_e32 v13, v35, v13
	v_fma_f32 v35, 0x3ed4b147, v66, -v67
	v_fmac_f32_e32 v67, 0x3ed4b147, v66
	v_fmac_f32_e32 v47, 0xbf75a155, v46
	v_dual_add_f32 v45, v37, v45 :: v_dual_add_f32 v56, v36, v56
	v_dual_add_f32 v63, v36, v63 :: v_dual_mul_f32 v46, 0xbf68dda4, v12
	v_add_f32_e32 v34, v37, v34
	v_add_f32_e32 v44, v67, v44
	v_dual_add_f32 v36, v36, v47 :: v_dual_mul_f32 v47, 0xbf4178ce, v64
	v_mul_f32_e32 v49, 0xbf4178ce, v12
	v_add_f32_e32 v35, v35, v54
	v_mul_f32_e32 v65, 0x3f7d64f0, v12
	global_wb scope:SCOPE_SE
	v_fma_f32 v54, 0xbf27a4f4, v66, -v47
	v_fmamk_f32 v37, v13, 0x3ed4b147, v46
	v_fma_f32 v46, 0x3ed4b147, v13, -v46
	v_fmac_f32_e32 v47, 0xbf27a4f4, v66
	s_wait_kmcnt 0x0
	s_barrier_signal -1
	v_dual_add_f32 v54, v54, v56 :: v_dual_add_f32 v37, v37, v55
	v_mul_f32_e32 v55, 0x3e903f40, v64
	v_add_f32_e32 v45, v46, v45
	v_dual_add_f32 v47, v47, v50 :: v_dual_mul_f32 v50, 0x3f7d64f0, v64
	s_barrier_wait -1
	s_delay_alu instid0(VALU_DEP_3)
	v_fma_f32 v56, 0xbf75a155, v66, -v55
	global_inv scope:SCOPE_SE
	v_add_f32_e32 v70, v19, v25
	v_sub_f32_e32 v100, v26, v16
	v_add_f32_e32 v42, v56, v42
	v_fmamk_f32 v46, v13, 0xbf27a4f4, v49
	v_fma_f32 v49, 0xbf27a4f4, v13, -v49
	s_delay_alu instid0(VALU_DEP_2) | instskip(NEXT) | instid1(VALU_DEP_2)
	v_dual_add_f32 v46, v46, v57 :: v_dual_mul_f32 v57, 0x3e903f40, v12
	v_dual_add_f32 v49, v49, v51 :: v_dual_mul_f32 v12, 0x3f0a6770, v12
	s_delay_alu instid0(VALU_DEP_2) | instskip(SKIP_2) | instid1(VALU_DEP_3)
	v_fma_f32 v56, 0xbf75a155, v13, -v57
	v_fmamk_f32 v51, v13, 0xbf75a155, v57
	v_fma_f32 v57, 0xbe11bafb, v66, -v50
	v_dual_fmac_f32 v50, 0xbe11bafb, v66 :: v_dual_add_f32 v43, v56, v43
	s_delay_alu instid0(VALU_DEP_3) | instskip(NEXT) | instid1(VALU_DEP_2)
	v_dual_fmamk_f32 v56, v13, 0xbe11bafb, v65 :: v_dual_add_f32 v51, v51, v58
	v_dual_add_f32 v50, v50, v59 :: v_dual_sub_f32 v59, v15, v33
	s_delay_alu instid0(VALU_DEP_2) | instskip(SKIP_3) | instid1(VALU_DEP_2)
	v_add_f32_e32 v56, v56, v62
	v_fmamk_f32 v62, v13, 0x3f575c64, v12
	v_fmac_f32_e32 v55, 0xbf75a155, v66
	v_fma_f32 v12, 0x3f575c64, v13, -v12
	v_dual_add_f32 v48, v62, v48 :: v_dual_add_f32 v53, v55, v53
	v_add_f32_e32 v55, v57, v61
	s_delay_alu instid0(VALU_DEP_3) | instskip(SKIP_2) | instid1(VALU_DEP_3)
	v_dual_mul_f32 v57, 0x3f0a6770, v64 :: v_dual_add_f32 v12, v12, v34
	v_fma_f32 v58, 0xbe11bafb, v13, -v65
	v_add_f32_e32 v65, v4, v30
	v_fma_f32 v61, 0x3f575c64, v66, -v57
	s_delay_alu instid0(VALU_DEP_3) | instskip(NEXT) | instid1(VALU_DEP_2)
	v_add_f32_e32 v58, v58, v60
	v_dual_add_f32 v60, v61, v63 :: v_dual_add_f32 v61, v32, v14
	v_sub_f32_e32 v14, v14, v32
	v_mul_f32_e32 v32, 0xbf7d64f0, v59
	v_add_f32_e32 v13, v33, v15
	s_delay_alu instid0(VALU_DEP_2) | instskip(SKIP_1) | instid1(VALU_DEP_1)
	v_fma_f32 v33, 0xbe11bafb, v61, -v32
	v_fmac_f32_e32 v32, 0xbe11bafb, v61
	v_add_f32_e32 v32, v32, v44
	v_mul_f32_e32 v34, 0x3e903f40, v59
	s_delay_alu instid0(VALU_DEP_4) | instskip(SKIP_1) | instid1(VALU_DEP_3)
	v_add_f32_e32 v33, v33, v35
	v_mul_f32_e32 v44, 0x3f68dda4, v59
	v_fma_f32 v35, 0xbf75a155, v61, -v34
	v_fmac_f32_e32 v34, 0xbf75a155, v61
	s_delay_alu instid0(VALU_DEP_3) | instskip(SKIP_2) | instid1(VALU_DEP_4)
	v_fma_f32 v62, 0x3ed4b147, v61, -v44
	v_fmac_f32_e32 v44, 0x3ed4b147, v61
	v_mul_f32_e32 v15, 0xbf7d64f0, v14
	v_dual_add_f32 v35, v35, v54 :: v_dual_add_f32 v34, v34, v47
	s_delay_alu instid0(VALU_DEP_3) | instskip(SKIP_2) | instid1(VALU_DEP_3)
	v_dual_fmac_f32 v57, 0x3f575c64, v66 :: v_dual_add_f32 v44, v44, v53
	v_dual_add_f32 v42, v62, v42 :: v_dual_mul_f32 v53, 0xbf4178ce, v59
	v_add_f32_e32 v66, v5, v31
	v_add_f32_e32 v36, v57, v36
	v_fmamk_f32 v57, v13, 0xbe11bafb, v15
	v_fma_f32 v15, 0xbe11bafb, v13, -v15
	s_delay_alu instid0(VALU_DEP_2) | instskip(SKIP_1) | instid1(VALU_DEP_3)
	v_add_f32_e32 v37, v57, v37
	v_mul_f32_e32 v57, 0x3e903f40, v14
	v_add_f32_e32 v15, v15, v45
	s_delay_alu instid0(VALU_DEP_2) | instskip(SKIP_2) | instid1(VALU_DEP_2)
	v_fmamk_f32 v45, v13, 0xbf75a155, v57
	v_fma_f32 v54, 0xbf75a155, v13, -v57
	v_mul_f32_e32 v57, 0x3f68dda4, v14
	v_dual_add_f32 v45, v45, v46 :: v_dual_add_f32 v46, v54, v49
	v_mul_f32_e32 v49, 0xbf0a6770, v59
	s_delay_alu instid0(VALU_DEP_3) | instskip(SKIP_1) | instid1(VALU_DEP_3)
	v_fmamk_f32 v47, v13, 0x3ed4b147, v57
	v_fma_f32 v54, 0x3ed4b147, v13, -v57
	v_fma_f32 v57, 0x3f575c64, v61, -v49
	s_delay_alu instid0(VALU_DEP_3) | instskip(NEXT) | instid1(VALU_DEP_3)
	v_add_f32_e32 v47, v47, v51
	v_add_f32_e32 v43, v54, v43
	v_fmac_f32_e32 v49, 0x3f575c64, v61
	s_delay_alu instid0(VALU_DEP_4) | instskip(SKIP_4) | instid1(VALU_DEP_3)
	v_add_f32_e32 v55, v57, v55
	v_fma_f32 v57, 0xbf27a4f4, v61, -v53
	v_fmac_f32_e32 v53, 0xbf27a4f4, v61
	v_mul_f32_e32 v51, 0xbf0a6770, v14
	v_mul_f32_e32 v14, 0xbf4178ce, v14
	v_add_f32_e32 v36, v53, v36
	s_delay_alu instid0(VALU_DEP_3) | instskip(SKIP_1) | instid1(VALU_DEP_2)
	v_fmamk_f32 v54, v13, 0x3f575c64, v51
	v_fma_f32 v51, 0x3f575c64, v13, -v51
	v_add_f32_e32 v54, v54, v56
	v_sub_f32_e32 v56, v1, v11
	v_add_f32_e32 v49, v49, v50
	s_delay_alu instid0(VALU_DEP_4)
	v_add_f32_e32 v50, v51, v58
	v_dual_sub_f32 v58, v0, v10 :: v_dual_add_f32 v51, v57, v60
	v_dual_fmamk_f32 v57, v13, 0xbf27a4f4, v14 :: v_dual_add_f32 v0, v10, v0
	v_mul_f32_e32 v10, 0xbf4178ce, v56
	v_fma_f32 v13, 0xbf27a4f4, v13, -v14
	v_add_f32_e32 v1, v11, v1
	s_delay_alu instid0(VALU_DEP_4) | instskip(NEXT) | instid1(VALU_DEP_4)
	v_dual_mul_f32 v11, 0xbf4178ce, v58 :: v_dual_add_f32 v14, v57, v48
	v_fma_f32 v48, 0xbf27a4f4, v0, -v10
	s_delay_alu instid0(VALU_DEP_4) | instskip(SKIP_1) | instid1(VALU_DEP_4)
	v_add_f32_e32 v12, v13, v12
	v_mul_f32_e32 v53, 0x3f7d64f0, v56
	v_dual_fmamk_f32 v13, v1, 0xbf27a4f4, v11 :: v_dual_fmac_f32 v10, 0xbf27a4f4, v0
	s_delay_alu instid0(VALU_DEP_4) | instskip(SKIP_1) | instid1(VALU_DEP_3)
	v_dual_add_f32 v33, v48, v33 :: v_dual_mul_f32 v48, 0x3f7d64f0, v58
	v_mul_f32_e32 v57, 0xbf0a6770, v58
	v_add_f32_e32 v13, v13, v37
	v_fma_f32 v37, 0xbe11bafb, v0, -v53
	v_fmac_f32_e32 v53, 0xbe11bafb, v0
	v_add_f32_e32 v10, v10, v32
	s_delay_alu instid0(VALU_DEP_3) | instskip(NEXT) | instid1(VALU_DEP_3)
	v_add_f32_e32 v32, v37, v35
	v_add_f32_e32 v34, v53, v34
	v_fmamk_f32 v35, v1, 0xbe11bafb, v48
	v_fma_f32 v37, 0xbe11bafb, v1, -v48
	v_fma_f32 v53, 0x3f575c64, v1, -v57
	s_delay_alu instid0(VALU_DEP_3) | instskip(NEXT) | instid1(VALU_DEP_3)
	v_add_f32_e32 v35, v35, v45
	v_add_f32_e32 v37, v37, v46
	v_fmamk_f32 v45, v1, 0x3f575c64, v57
	s_delay_alu instid0(VALU_DEP_1) | instskip(NEXT) | instid1(VALU_DEP_1)
	v_dual_mul_f32 v46, 0xbe903f40, v56 :: v_dual_add_f32 v45, v45, v47
	v_fma_f32 v47, 0xbf75a155, v0, -v46
	v_fmac_f32_e32 v46, 0xbf75a155, v0
	s_delay_alu instid0(VALU_DEP_1) | instskip(SKIP_4) | instid1(VALU_DEP_4)
	v_add_f32_e32 v46, v46, v49
	v_fma_f32 v11, 0xbf27a4f4, v1, -v11
	v_sub_f32_e32 v49, v3, v9
	v_add_f32_e32 v43, v53, v43
	v_mul_f32_e32 v53, 0x3f68dda4, v56
	v_add_f32_e32 v11, v11, v15
	v_mul_f32_e32 v15, 0xbf0a6770, v56
	v_mul_f32_e32 v56, 0xbe903f40, v49
	s_delay_alu instid0(VALU_DEP_2) | instskip(NEXT) | instid1(VALU_DEP_1)
	v_fma_f32 v48, 0x3f575c64, v0, -v15
	v_dual_fmac_f32 v15, 0x3f575c64, v0 :: v_dual_add_f32 v42, v48, v42
	s_delay_alu instid0(VALU_DEP_1) | instskip(NEXT) | instid1(VALU_DEP_1)
	v_dual_mul_f32 v48, 0xbe903f40, v58 :: v_dual_add_f32 v15, v15, v44
	v_fmamk_f32 v44, v1, 0xbf75a155, v48
	v_fma_f32 v48, 0xbf75a155, v1, -v48
	s_delay_alu instid0(VALU_DEP_2) | instskip(SKIP_1) | instid1(VALU_DEP_3)
	v_add_f32_e32 v44, v44, v54
	v_fma_f32 v54, 0x3ed4b147, v0, -v53
	v_dual_add_f32 v48, v48, v50 :: v_dual_fmac_f32 v53, 0x3ed4b147, v0
	v_add_f32_e32 v47, v47, v55
	s_delay_alu instid0(VALU_DEP_3) | instskip(SKIP_1) | instid1(VALU_DEP_2)
	v_dual_mul_f32 v55, 0x3f68dda4, v58 :: v_dual_add_f32 v50, v54, v51
	v_add_f32_e32 v54, v8, v2
	v_dual_sub_f32 v2, v2, v8 :: v_dual_fmamk_f32 v51, v1, 0x3ed4b147, v55
	v_fma_f32 v0, 0x3ed4b147, v1, -v55
	v_add_f32_e32 v1, v9, v3
	s_delay_alu instid0(VALU_DEP_4) | instskip(NEXT) | instid1(VALU_DEP_4)
	v_fma_f32 v3, 0xbf75a155, v54, -v56
	v_mul_f32_e32 v8, 0xbe903f40, v2
	v_fmac_f32_e32 v56, 0xbf75a155, v54
	s_delay_alu instid0(VALU_DEP_3) | instskip(NEXT) | instid1(VALU_DEP_3)
	v_dual_add_f32 v0, v0, v12 :: v_dual_add_f32 v77, v3, v33
	v_fmamk_f32 v3, v1, 0xbf75a155, v8
	v_fma_f32 v8, 0xbf75a155, v1, -v8
	s_delay_alu instid0(VALU_DEP_2) | instskip(NEXT) | instid1(VALU_DEP_2)
	v_dual_mul_f32 v33, 0x3f0a6770, v2 :: v_dual_add_f32 v78, v3, v13
	v_add_f32_e32 v80, v8, v11
	s_delay_alu instid0(VALU_DEP_2) | instskip(SKIP_2) | instid1(VALU_DEP_3)
	v_dual_fmamk_f32 v8, v1, 0x3f575c64, v33 :: v_dual_add_f32 v79, v56, v10
	v_mul_f32_e32 v10, 0xbf4178ce, v49
	v_mul_f32_e32 v12, 0x3f0a6770, v49
	v_dual_mul_f32 v11, 0xbf4178ce, v2 :: v_dual_add_f32 v82, v8, v35
	v_mul_f32_e32 v13, 0x3f68dda4, v2
	s_delay_alu instid0(VALU_DEP_4) | instskip(NEXT) | instid1(VALU_DEP_4)
	v_fma_f32 v8, 0xbf27a4f4, v54, -v10
	v_fma_f32 v3, 0x3f575c64, v54, -v12
	v_fmac_f32_e32 v12, 0x3f575c64, v54
	v_fmac_f32_e32 v10, 0xbf27a4f4, v54
	v_mul_f32_e32 v2, 0xbf7d64f0, v2
	v_dual_add_f32 v85, v8, v42 :: v_dual_fmamk_f32 v8, v1, 0xbf27a4f4, v11
	v_fma_f32 v11, 0xbf27a4f4, v1, -v11
	v_add_f32_e32 v81, v3, v32
	v_dual_add_f32 v87, v10, v15 :: v_dual_mul_f32 v10, 0xbf7d64f0, v49
	s_delay_alu instid0(VALU_DEP_4) | instskip(NEXT) | instid1(VALU_DEP_4)
	v_add_f32_e32 v86, v8, v45
	v_add_f32_e32 v88, v11, v43
	v_fma_f32 v11, 0x3ed4b147, v1, -v13
	v_add_f32_e32 v83, v12, v34
	v_dual_add_f32 v45, v40, v22 :: v_dual_add_f32 v56, v7, v29
	s_delay_alu instid0(VALU_DEP_3) | instskip(SKIP_4) | instid1(VALU_DEP_4)
	v_add_f32_e32 v92, v11, v48
	v_fma_f32 v3, 0x3f575c64, v1, -v33
	v_dual_add_f32 v48, v41, v23 :: v_dual_add_f32 v9, v51, v14
	v_fmamk_f32 v8, v1, 0x3ed4b147, v13
	v_add_f32_e32 v14, v53, v36
	v_add_f32_e32 v84, v3, v37
	v_mul_f32_e32 v3, 0x3f68dda4, v49
	v_sub_f32_e32 v51, v28, v6
	v_add_f32_e32 v90, v8, v44
	v_fma_f32 v8, 0xbe11bafb, v54, -v10
	v_fmac_f32_e32 v10, 0xbe11bafb, v54
	s_delay_alu instid0(VALU_DEP_2) | instskip(SKIP_1) | instid1(VALU_DEP_2)
	v_dual_add_f32 v93, v8, v50 :: v_dual_sub_f32 v8, v22, v40
	v_fma_f32 v12, 0x3ed4b147, v54, -v3
	v_dual_add_f32 v95, v10, v14 :: v_dual_mul_f32 v44, 0xbf7d64f0, v8
	s_delay_alu instid0(VALU_DEP_2) | instskip(SKIP_3) | instid1(VALU_DEP_4)
	v_dual_add_f32 v89, v12, v47 :: v_dual_fmamk_f32 v12, v1, 0xbe11bafb, v2
	v_fma_f32 v1, 0xbe11bafb, v1, -v2
	v_fmac_f32_e32 v3, 0x3ed4b147, v54
	v_mul_f32_e32 v33, 0xbf0a6770, v8
	v_dual_mul_f32 v13, 0xbf4178ce, v8 :: v_dual_add_f32 v94, v12, v9
	s_delay_alu instid0(VALU_DEP_3) | instskip(SKIP_1) | instid1(VALU_DEP_4)
	v_dual_add_f32 v96, v1, v0 :: v_dual_add_f32 v91, v3, v46
	v_sub_f32_e32 v3, v23, v41
	v_fma_f32 v0, 0x3f575c64, v48, -v33
	v_fma_f32 v12, 0xbe11bafb, v48, -v44
	v_mul_f32_e32 v37, 0xbf68dda4, v8
	v_mul_f32_e32 v8, 0xbe903f40, v8
	;; [unrolled: 1-line block ×4, first 2 shown]
	v_add_f32_e32 v0, v0, v21
	v_add_f32_e32 v12, v12, v21
	v_fmamk_f32 v46, v48, 0xbf75a155, v8
	v_fmamk_f32 v2, v45, 0x3f575c64, v32
	;; [unrolled: 1-line block ×3, first 2 shown]
	v_fma_f32 v13, 0xbf27a4f4, v48, -v13
	v_fma_f32 v9, 0x3ed4b147, v48, -v37
	v_add_f32_e32 v54, v46, v21
	v_dual_add_f32 v1, v2, v20 :: v_dual_fmamk_f32 v2, v45, 0x3ed4b147, v36
	v_mul_f32_e32 v11, 0xbf4178ce, v3
	v_dual_mul_f32 v42, 0xbf7d64f0, v3 :: v_dual_add_f32 v13, v13, v21
	v_fma_f32 v8, 0xbf75a155, v48, -v8
	s_delay_alu instid0(VALU_DEP_4) | instskip(NEXT) | instid1(VALU_DEP_4)
	v_dual_add_f32 v2, v2, v20 :: v_dual_mul_f32 v35, 0xbf68dda4, v51
	v_fma_f32 v14, 0xbf27a4f4, v45, -v11
	v_mul_f32_e32 v3, 0xbe903f40, v3
	s_delay_alu instid0(VALU_DEP_4) | instskip(NEXT) | instid1(VALU_DEP_4)
	v_dual_sub_f32 v47, v29, v7 :: v_dual_add_f32 v8, v8, v21
	v_fma_f32 v50, 0x3ed4b147, v56, -v35
	s_delay_alu instid0(VALU_DEP_4) | instskip(NEXT) | instid1(VALU_DEP_4)
	v_dual_fmac_f32 v11, 0xbf27a4f4, v45 :: v_dual_add_f32 v14, v14, v20
	v_fma_f32 v34, 0xbf75a155, v45, -v3
	v_fmamk_f32 v10, v45, 0xbe11bafb, v42
	s_delay_alu instid0(VALU_DEP_4) | instskip(NEXT) | instid1(VALU_DEP_4)
	v_add_f32_e32 v0, v50, v0
	v_add_f32_e32 v11, v11, v20
	v_dual_add_f32 v55, v6, v28 :: v_dual_mul_f32 v58, 0x3f7d64f0, v47
	v_dual_add_f32 v43, v34, v20 :: v_dual_mul_f32 v46, 0xbf4178ce, v47
	v_dual_mul_f32 v50, 0x3e903f40, v47 :: v_dual_add_f32 v9, v9, v21
	v_dual_add_f32 v10, v10, v20 :: v_dual_add_f32 v15, v15, v21
	v_mul_f32_e32 v34, 0xbf68dda4, v47
	v_mul_f32_e32 v53, 0x3e903f40, v51
	s_delay_alu instid0(VALU_DEP_4)
	v_fmamk_f32 v59, v55, 0xbf75a155, v50
	v_fmac_f32_e32 v3, 0xbf75a155, v45
	v_fma_f32 v61, 0xbe11bafb, v55, -v58
	v_fmamk_f32 v57, v55, 0xbf27a4f4, v46
	v_fma_f32 v60, 0xbf75a155, v56, -v53
	v_fmamk_f32 v49, v55, 0x3ed4b147, v34
	v_mul_f32_e32 v62, 0x3f7d64f0, v51
	v_add_f32_e32 v10, v59, v10
	v_dual_add_f32 v3, v3, v20 :: v_dual_add_f32 v14, v61, v14
	v_dual_add_f32 v2, v57, v2 :: v_dual_mul_f32 v59, 0x3f0a6770, v47
	v_dual_mul_f32 v47, 0x3f0a6770, v51 :: v_dual_add_f32 v12, v60, v12
	v_dual_add_f32 v1, v49, v1 :: v_dual_fmac_f32 v58, 0xbe11bafb, v55
	v_mul_f32_e32 v49, 0xbf4178ce, v51
	v_fma_f32 v51, 0xbe11bafb, v56, -v62
	s_delay_alu instid0(VALU_DEP_3) | instskip(SKIP_1) | instid1(VALU_DEP_3)
	v_dual_fmamk_f32 v60, v56, 0x3f575c64, v47 :: v_dual_add_f32 v11, v58, v11
	v_fma_f32 v58, 0x3f575c64, v56, -v47
	v_add_f32_e32 v13, v51, v13
	v_sub_f32_e32 v51, v31, v5
	s_delay_alu instid0(VALU_DEP_4) | instskip(SKIP_1) | instid1(VALU_DEP_2)
	v_dual_add_f32 v63, v60, v54 :: v_dual_sub_f32 v54, v30, v4
	v_fma_f32 v57, 0xbf27a4f4, v56, -v49
	v_dual_add_f32 v8, v58, v8 :: v_dual_mul_f32 v61, 0x3f68dda4, v54
	s_delay_alu instid0(VALU_DEP_2) | instskip(SKIP_2) | instid1(VALU_DEP_4)
	v_dual_add_f32 v9, v57, v9 :: v_dual_mul_f32 v58, 0x3e903f40, v54
	v_fmamk_f32 v57, v56, 0xbe11bafb, v62
	v_mul_f32_e32 v47, 0xbf7d64f0, v54
	v_fma_f32 v68, 0x3ed4b147, v66, -v61
	s_delay_alu instid0(VALU_DEP_3) | instskip(SKIP_1) | instid1(VALU_DEP_3)
	v_add_f32_e32 v15, v57, v15
	v_fma_f32 v57, 0x3f575c64, v55, -v59
	v_add_f32_e32 v12, v68, v12
	s_delay_alu instid0(VALU_DEP_2) | instskip(SKIP_1) | instid1(VALU_DEP_1)
	v_add_f32_e32 v62, v57, v43
	v_mul_f32_e32 v57, 0x3e903f40, v51
	v_fmamk_f32 v64, v65, 0xbf75a155, v57
	v_mul_f32_e32 v43, 0xbf7d64f0, v51
	v_mul_f32_e32 v68, 0xbf4178ce, v51
	s_delay_alu instid0(VALU_DEP_3) | instskip(NEXT) | instid1(VALU_DEP_3)
	v_dual_mul_f32 v67, 0xbf0a6770, v51 :: v_dual_add_f32 v2, v64, v2
	v_fmamk_f32 v60, v65, 0xbe11bafb, v43
	s_delay_alu instid0(VALU_DEP_1) | instskip(NEXT) | instid1(VALU_DEP_1)
	v_dual_add_f32 v1, v60, v1 :: v_dual_mul_f32 v60, 0x3f68dda4, v51
	v_fmamk_f32 v64, v65, 0x3ed4b147, v60
	s_delay_alu instid0(VALU_DEP_1) | instskip(SKIP_2) | instid1(VALU_DEP_2)
	v_add_f32_e32 v10, v64, v10
	v_fma_f32 v64, 0x3f575c64, v65, -v67
	v_fmac_f32_e32 v59, 0x3f575c64, v55
	v_dual_fmac_f32 v67, 0x3f575c64, v65 :: v_dual_add_f32 v14, v64, v14
	v_fma_f32 v64, 0xbf27a4f4, v65, -v68
	s_delay_alu instid0(VALU_DEP_3) | instskip(NEXT) | instid1(VALU_DEP_3)
	v_add_f32_e32 v3, v59, v3
	v_dual_add_f32 v11, v67, v11 :: v_dual_fmac_f32 v68, 0xbf27a4f4, v65
	s_delay_alu instid0(VALU_DEP_3) | instskip(SKIP_4) | instid1(VALU_DEP_4)
	v_add_f32_e32 v62, v64, v62
	v_sub_f32_e32 v64, v25, v19
	v_fma_f32 v59, 0xbe11bafb, v66, -v47
	v_add_f32_e32 v71, v18, v24
	v_sub_f32_e32 v69, v24, v18
	v_dual_add_f32 v3, v68, v3 :: v_dual_mul_f32 v74, 0xbe903f40, v64
	s_delay_alu instid0(VALU_DEP_4) | instskip(SKIP_2) | instid1(VALU_DEP_4)
	v_add_f32_e32 v0, v59, v0
	v_fma_f32 v59, 0xbf75a155, v66, -v58
	v_mul_f32_e32 v68, 0xbf0a6770, v64
	v_fma_f32 v97, 0xbf75a155, v71, -v74
	s_delay_alu instid0(VALU_DEP_3) | instskip(SKIP_1) | instid1(VALU_DEP_1)
	v_add_f32_e32 v9, v59, v9
	v_mul_f32_e32 v59, 0xbf0a6770, v54
	v_dual_add_f32 v14, v97, v14 :: v_dual_fmamk_f32 v51, v66, 0x3f575c64, v59
	s_delay_alu instid0(VALU_DEP_1) | instskip(SKIP_1) | instid1(VALU_DEP_1)
	v_add_f32_e32 v15, v51, v15
	v_mul_f32_e32 v51, 0xbf4178ce, v64
	v_fmamk_f32 v72, v71, 0xbf27a4f4, v51
	s_delay_alu instid0(VALU_DEP_1) | instskip(SKIP_2) | instid1(VALU_DEP_2)
	v_add_f32_e32 v1, v72, v1
	v_mul_f32_e32 v72, 0xbf0a6770, v69
	v_fma_f32 v59, 0x3f575c64, v66, -v59
	v_fma_f32 v76, 0x3f575c64, v70, -v72
	v_mul_f32_e32 v67, 0xbf4178ce, v54
	s_delay_alu instid0(VALU_DEP_3) | instskip(SKIP_1) | instid1(VALU_DEP_3)
	v_add_f32_e32 v13, v59, v13
	v_mul_f32_e32 v54, 0xbf4178ce, v69
	v_dual_add_f32 v12, v76, v12 :: v_dual_fmamk_f32 v59, v66, 0xbf27a4f4, v67
	v_fma_f32 v67, 0xbf27a4f4, v66, -v67
	s_delay_alu instid0(VALU_DEP_3) | instskip(NEXT) | instid1(VALU_DEP_3)
	v_fma_f32 v73, 0xbf27a4f4, v70, -v54
	v_dual_mul_f32 v76, 0x3f68dda4, v64 :: v_dual_add_f32 v63, v59, v63
	s_delay_alu instid0(VALU_DEP_3) | instskip(SKIP_1) | instid1(VALU_DEP_4)
	v_dual_add_f32 v8, v67, v8 :: v_dual_mul_f32 v67, 0x3f7d64f0, v69
	v_mul_f32_e32 v59, 0x3f7d64f0, v64
	v_add_f32_e32 v0, v73, v0
	s_delay_alu instid0(VALU_DEP_3) | instskip(NEXT) | instid1(VALU_DEP_3)
	v_fma_f32 v75, 0xbe11bafb, v70, -v67
	v_fmamk_f32 v73, v71, 0xbe11bafb, v59
	s_delay_alu instid0(VALU_DEP_2) | instskip(NEXT) | instid1(VALU_DEP_2)
	v_add_f32_e32 v9, v75, v9
	v_dual_mul_f32 v75, 0xbe903f40, v69 :: v_dual_add_f32 v2, v73, v2
	v_fmamk_f32 v73, v71, 0x3f575c64, v68
	v_mul_f32_e32 v69, 0x3f68dda4, v69
	s_delay_alu instid0(VALU_DEP_3) | instskip(NEXT) | instid1(VALU_DEP_3)
	v_fmamk_f32 v64, v70, 0xbf75a155, v75
	v_add_f32_e32 v10, v73, v10
	v_fma_f32 v73, 0xbf75a155, v70, -v75
	v_fma_f32 v75, 0x3ed4b147, v71, -v76
	s_delay_alu instid0(VALU_DEP_4) | instskip(NEXT) | instid1(VALU_DEP_2)
	v_dual_add_f32 v15, v64, v15 :: v_dual_fmamk_f32 v64, v70, 0x3ed4b147, v69
	v_dual_add_f32 v98, v75, v62 :: v_dual_add_f32 v97, v73, v13
	v_fmac_f32_e32 v76, 0x3ed4b147, v71
	s_delay_alu instid0(VALU_DEP_3) | instskip(SKIP_2) | instid1(VALU_DEP_4)
	v_add_f32_e32 v101, v64, v63
	v_dual_add_f32 v75, v16, v26 :: v_dual_mul_f32 v64, 0x3f0a6770, v99
	v_fmac_f32_e32 v74, 0xbf75a155, v71
	v_add_f32_e32 v102, v76, v3
	v_dual_add_f32 v73, v17, v27 :: v_dual_mul_f32 v76, 0xbf4178ce, v100
	s_delay_alu instid0(VALU_DEP_4) | instskip(NEXT) | instid1(VALU_DEP_4)
	v_fmamk_f32 v3, v75, 0x3f575c64, v64
	v_add_f32_e32 v11, v74, v11
	s_delay_alu instid0(VALU_DEP_3) | instskip(NEXT) | instid1(VALU_DEP_3)
	v_fma_f32 v104, 0xbf27a4f4, v73, -v76
	v_add_f32_e32 v2, v3, v2
	v_fma_f32 v13, 0x3ed4b147, v70, -v69
	s_delay_alu instid0(VALU_DEP_1) | instskip(SKIP_1) | instid1(VALU_DEP_2)
	v_dual_add_f32 v103, v13, v8 :: v_dual_mul_f32 v8, 0x3f68dda4, v99
	v_mul_f32_e32 v13, 0x3f68dda4, v100
	v_fma_f32 v134, 0x3ed4b147, v75, -v8
	v_fmac_f32_e32 v8, 0x3ed4b147, v75
	v_dual_mul_f32 v62, 0xbe903f40, v99 :: v_dual_mul_f32 v63, 0xbe903f40, v100
	s_delay_alu instid0(VALU_DEP_1) | instskip(NEXT) | instid1(VALU_DEP_2)
	v_fmamk_f32 v69, v75, 0xbf75a155, v62
	v_fma_f32 v74, 0xbf75a155, v73, -v63
	s_delay_alu instid0(VALU_DEP_2) | instskip(NEXT) | instid1(VALU_DEP_2)
	v_dual_add_f32 v130, v69, v1 :: v_dual_mul_f32 v69, 0x3f0a6770, v100
	v_dual_add_f32 v131, v74, v0 :: v_dual_mul_f32 v74, 0xbf4178ce, v99
	s_delay_alu instid0(VALU_DEP_2) | instskip(NEXT) | instid1(VALU_DEP_2)
	v_fma_f32 v0, 0x3f575c64, v73, -v69
	v_fmamk_f32 v1, v75, 0xbf27a4f4, v74
	s_delay_alu instid0(VALU_DEP_2) | instskip(SKIP_1) | instid1(VALU_DEP_3)
	v_add_f32_e32 v3, v0, v9
	v_fmamk_f32 v9, v73, 0x3ed4b147, v13
	v_dual_add_f32 v0, v1, v10 :: v_dual_add_f32 v1, v104, v12
	v_add_f32_e32 v12, v134, v14
	v_fma_f32 v14, 0x3ed4b147, v73, -v13
	s_delay_alu instid0(VALU_DEP_4) | instskip(SKIP_4) | instid1(VALU_DEP_4)
	v_add_f32_e32 v13, v9, v15
	v_mul_f32_e32 v9, 0xbf7d64f0, v99
	v_dual_mul_f32 v15, 0xbf7d64f0, v100 :: v_dual_add_f32 v10, v8, v11
	v_mul_lo_u16 v8, v133, 11
	v_add_f32_e32 v11, v14, v97
	v_fma_f32 v14, 0xbe11bafb, v75, -v9
	s_delay_alu instid0(VALU_DEP_4) | instskip(SKIP_3) | instid1(VALU_DEP_4)
	v_fmamk_f32 v97, v73, 0xbe11bafb, v15
	v_fmac_f32_e32 v9, 0xbe11bafb, v75
	v_fma_f32 v99, 0xbe11bafb, v73, -v15
	v_and_b32_e32 v100, 0xffff, v8
	v_dual_add_f32 v14, v14, v98 :: v_dual_add_f32 v15, v97, v101
	s_delay_alu instid0(VALU_DEP_3) | instskip(NEXT) | instid1(VALU_DEP_3)
	v_dual_add_f32 v8, v9, v102 :: v_dual_add_f32 v9, v99, v103
	v_lshlrev_b32_e32 v139, 3, v100
	v_mul_u32_u24_e32 v134, 11, v52
	ds_store_2addr_b64 v139, v[38:39], v[77:78] offset1:1
	ds_store_2addr_b64 v139, v[81:82], v[85:86] offset0:2 offset1:3
	ds_store_2addr_b64 v139, v[89:90], v[93:94] offset0:4 offset1:5
	ds_store_2addr_b64 v139, v[95:96], v[91:92] offset0:6 offset1:7
	ds_store_2addr_b64 v139, v[87:88], v[83:84] offset0:8 offset1:9
	ds_store_b64 v139, v[79:80] offset:80
	s_and_saveexec_b32 s0, vcc_lo
	s_cbranch_execz .LBB0_7
; %bb.6:
	v_dual_mul_f32 v38, 0x3f575c64, v45 :: v_dual_mul_f32 v39, 0x3f575c64, v48
	v_dual_mul_f32 v77, 0x3ed4b147, v45 :: v_dual_mul_f32 v78, 0x3ed4b147, v48
	;; [unrolled: 1-line block ×6, first 2 shown]
	s_delay_alu instid0(VALU_DEP_4)
	v_dual_mul_f32 v87, 0xbf27a4f4, v71 :: v_dual_add_f32 v44, v44, v48
	v_dual_mul_f32 v83, 0xbe11bafb, v65 :: v_dual_mul_f32 v84, 0xbe11bafb, v66
	v_dual_mul_f32 v85, 0xbf75a155, v65 :: v_dual_mul_f32 v86, 0xbf75a155, v66
	;; [unrolled: 1-line block ×3, first 2 shown]
	v_dual_mul_f32 v48, 0xbf27a4f4, v70 :: v_dual_add_f32 v53, v53, v56
	v_dual_mul_f32 v88, 0xbe11bafb, v71 :: v_dual_mul_f32 v89, 0xbe11bafb, v70
	v_dual_mul_f32 v71, 0x3f575c64, v71 :: v_dual_add_f32 v44, v44, v21
	v_mul_f32_e32 v56, 0x3f575c64, v70
	v_mul_f32_e32 v70, 0xbf75a155, v73
	v_dual_sub_f32 v42, v45, v42 :: v_dual_mul_f32 v45, 0xbf75a155, v75
	s_delay_alu instid0(VALU_DEP_4) | instskip(SKIP_2) | instid1(VALU_DEP_4)
	v_add_f32_e32 v44, v53, v44
	v_add_f32_e32 v53, v61, v66
	v_mul_f32_e32 v61, 0x3f575c64, v73
	v_dual_add_f32 v23, v23, v21 :: v_dual_add_f32 v42, v42, v20
	v_add_f32_e32 v37, v37, v78
	s_delay_alu instid0(VALU_DEP_4) | instskip(SKIP_3) | instid1(VALU_DEP_3)
	v_add_f32_e32 v44, v53, v44
	v_dual_sub_f32 v50, v55, v50 :: v_dual_mul_f32 v55, 0x3f575c64, v75
	v_add_f32_e32 v53, v72, v56
	v_dual_add_f32 v22, v22, v20 :: v_dual_add_f32 v23, v29, v23
	v_dual_add_f32 v42, v50, v42 :: v_dual_add_f32 v37, v37, v21
	v_dual_sub_f32 v50, v65, v60 :: v_dual_sub_f32 v29, v88, v59
	s_delay_alu instid0(VALU_DEP_3) | instskip(SKIP_2) | instid1(VALU_DEP_4)
	v_dual_add_f32 v44, v53, v44 :: v_dual_add_f32 v23, v31, v23
	v_mul_f32_e32 v60, 0xbf27a4f4, v73
	v_dual_mul_f32 v56, 0xbf27a4f4, v75 :: v_dual_add_f32 v49, v49, v82
	v_add_f32_e32 v42, v50, v42
	v_sub_f32_e32 v50, v71, v68
	s_delay_alu instid0(VALU_DEP_4) | instskip(SKIP_3) | instid1(VALU_DEP_4)
	v_add_f32_e32 v53, v76, v60
	v_add_f32_e32 v23, v25, v23
	;; [unrolled: 1-line block ×3, first 2 shown]
	v_sub_f32_e32 v36, v77, v36
	v_dual_add_f32 v42, v50, v42 :: v_dual_add_f32 v37, v53, v44
	v_add_f32_e32 v44, v67, v89
	v_dual_sub_f32 v50, v56, v74 :: v_dual_add_f32 v33, v33, v39
	v_add_f32_e32 v56, v58, v86
	v_dual_sub_f32 v46, v81, v46 :: v_dual_add_f32 v25, v35, v80
	v_dual_add_f32 v23, v27, v23 :: v_dual_add_f32 v58, v36, v20
	s_delay_alu instid0(VALU_DEP_4) | instskip(NEXT) | instid1(VALU_DEP_4)
	v_dual_add_f32 v21, v33, v21 :: v_dual_add_f32 v36, v50, v42
	v_add_f32_e32 v42, v56, v49
	s_delay_alu instid0(VALU_DEP_3) | instskip(NEXT) | instid1(VALU_DEP_4)
	v_dual_sub_f32 v49, v85, v57 :: v_dual_add_f32 v46, v46, v58
	v_add_f32_e32 v17, v17, v23
	s_delay_alu instid0(VALU_DEP_4) | instskip(NEXT) | instid1(VALU_DEP_4)
	v_add_f32_e32 v21, v25, v21
	v_dual_add_f32 v25, v47, v84 :: v_dual_add_f32 v42, v44, v42
	v_dual_sub_f32 v23, v83, v43 :: v_dual_add_f32 v44, v69, v61
	s_delay_alu instid0(VALU_DEP_4) | instskip(NEXT) | instid1(VALU_DEP_3)
	v_dual_add_f32 v46, v49, v46 :: v_dual_add_f32 v17, v19, v17
	v_dual_add_f32 v28, v28, v22 :: v_dual_add_f32 v21, v25, v21
	s_delay_alu instid0(VALU_DEP_3) | instskip(NEXT) | instid1(VALU_DEP_2)
	v_dual_sub_f32 v19, v87, v51 :: v_dual_add_f32 v22, v44, v42
	v_dual_add_f32 v5, v5, v17 :: v_dual_add_f32 v28, v30, v28
	s_delay_alu instid0(VALU_DEP_4) | instskip(NEXT) | instid1(VALU_DEP_2)
	v_dual_sub_f32 v30, v38, v32 :: v_dual_add_f32 v29, v29, v46
	v_dual_add_f32 v7, v7, v5 :: v_dual_add_f32 v24, v24, v28
	s_delay_alu instid0(VALU_DEP_1) | instskip(NEXT) | instid1(VALU_DEP_2)
	v_dual_add_f32 v20, v30, v20 :: v_dual_add_f32 v7, v41, v7
	v_add_f32_e32 v24, v26, v24
	s_delay_alu instid0(VALU_DEP_1) | instskip(SKIP_1) | instid1(VALU_DEP_2)
	v_add_f32_e32 v16, v16, v24
	v_add_f32_e32 v24, v54, v48
	;; [unrolled: 1-line block ×3, first 2 shown]
	s_delay_alu instid0(VALU_DEP_1) | instskip(SKIP_2) | instid1(VALU_DEP_3)
	v_add_f32_e32 v4, v4, v16
	v_add_f32_e32 v16, v63, v70
	v_sub_f32_e32 v28, v79, v34
	v_add_f32_e32 v6, v6, v4
	s_delay_alu instid0(VALU_DEP_2) | instskip(NEXT) | instid1(VALU_DEP_2)
	v_add_f32_e32 v20, v28, v20
	v_add_f32_e32 v6, v40, v6
	s_delay_alu instid0(VALU_DEP_2) | instskip(NEXT) | instid1(VALU_DEP_1)
	v_add_f32_e32 v18, v23, v20
	v_dual_add_f32 v20, v24, v21 :: v_dual_add_f32 v17, v19, v18
	v_dual_sub_f32 v19, v55, v64 :: v_dual_sub_f32 v18, v45, v62
	s_delay_alu instid0(VALU_DEP_2) | instskip(NEXT) | instid1(VALU_DEP_2)
	v_dual_add_f32 v5, v16, v20 :: v_dual_lshlrev_b32 v16, 3, v134
	v_add_f32_e32 v21, v19, v29
	s_delay_alu instid0(VALU_DEP_3)
	v_add_f32_e32 v4, v18, v17
	ds_store_2addr_b64 v16, v[6:7], v[4:5] offset1:1
	ds_store_2addr_b64 v16, v[21:22], v[36:37] offset0:2 offset1:3
	ds_store_2addr_b64 v16, v[12:13], v[14:15] offset0:4 offset1:5
	;; [unrolled: 1-line block ×4, first 2 shown]
	ds_store_b64 v16, v[130:131] offset:80
.LBB0_7:
	s_wait_alu 0xfffe
	s_or_b32 exec_lo, exec_lo, s0
	v_and_b32_e32 v4, 0xff, v133
	v_and_b32_e32 v5, 0xff, v52
	v_add_co_u32 v53, null, 0x6e, v133
	global_wb scope:SCOPE_SE
	s_wait_dscnt 0x0
	v_mul_lo_u16 v4, 0x75, v4
	v_mul_lo_u16 v5, 0x75, v5
	v_and_b32_e32 v59, 0xff, v53
	s_barrier_signal -1
	s_barrier_wait -1
	v_lshrrev_b16 v4, 8, v4
	v_lshrrev_b16 v5, 8, v5
	global_inv scope:SCOPE_SE
	v_sub_nc_u16 v6, v133, v4
	v_sub_nc_u16 v7, v52, v5
	s_delay_alu instid0(VALU_DEP_2) | instskip(NEXT) | instid1(VALU_DEP_2)
	v_lshrrev_b16 v6, 1, v6
	v_lshrrev_b16 v7, 1, v7
	s_delay_alu instid0(VALU_DEP_2) | instskip(NEXT) | instid1(VALU_DEP_1)
	v_and_b32_e32 v6, 0x7f, v6
	v_add_nc_u16 v4, v6, v4
	s_delay_alu instid0(VALU_DEP_3) | instskip(NEXT) | instid1(VALU_DEP_2)
	v_and_b32_e32 v6, 0x7f, v7
	v_lshrrev_b16 v60, 3, v4
	v_mul_lo_u16 v4, 0x75, v59
	s_delay_alu instid0(VALU_DEP_3) | instskip(NEXT) | instid1(VALU_DEP_3)
	v_add_nc_u16 v5, v6, v5
	v_mul_lo_u16 v6, v60, 11
	s_delay_alu instid0(VALU_DEP_3) | instskip(NEXT) | instid1(VALU_DEP_3)
	v_lshrrev_b16 v4, 8, v4
	v_lshrrev_b16 v61, 3, v5
	s_delay_alu instid0(VALU_DEP_3) | instskip(NEXT) | instid1(VALU_DEP_3)
	v_sub_nc_u16 v5, v133, v6
	v_sub_nc_u16 v6, v53, v4
	s_delay_alu instid0(VALU_DEP_3) | instskip(NEXT) | instid1(VALU_DEP_3)
	v_mul_lo_u16 v7, v61, 11
	v_and_b32_e32 v69, 0xff, v5
	s_delay_alu instid0(VALU_DEP_3) | instskip(NEXT) | instid1(VALU_DEP_3)
	v_lshrrev_b16 v5, 1, v6
	v_sub_nc_u16 v6, v52, v7
	v_lshlrev_b32_e32 v52, 4, v52
	s_delay_alu instid0(VALU_DEP_3) | instskip(NEXT) | instid1(VALU_DEP_3)
	v_and_b32_e32 v5, 0x7f, v5
	v_and_b32_e32 v70, 0xff, v6
	s_delay_alu instid0(VALU_DEP_2) | instskip(NEXT) | instid1(VALU_DEP_2)
	v_add_nc_u16 v4, v5, v4
	v_lshlrev_b32_e32 v5, 5, v70
	s_delay_alu instid0(VALU_DEP_2)
	v_lshrrev_b16 v62, 3, v4
	s_clause 0x1
	global_load_b128 v[24:27], v5, s[2:3]
	global_load_b128 v[16:19], v5, s[2:3] offset:16
	v_lshlrev_b32_e32 v7, 5, v69
	v_add_nc_u32_e32 v83, 0x1000, v132
	v_mul_lo_u16 v4, v62, 11
	v_and_b32_e32 v65, 0xffff, v61
	s_clause 0x1
	global_load_b128 v[32:35], v7, s[2:3]
	global_load_b128 v[28:31], v7, s[2:3] offset:16
	v_sub_nc_u16 v4, v53, v4
	v_add_nc_u32_e32 v84, 0x800, v132
	v_mul_u32_u24_e32 v74, 55, v65
	s_delay_alu instid0(VALU_DEP_3) | instskip(NEXT) | instid1(VALU_DEP_1)
	v_and_b32_e32 v71, 0xff, v4
	v_lshlrev_b32_e32 v4, 5, v71
	s_clause 0x1
	global_load_b128 v[20:23], v4, s[2:3]
	global_load_b128 v[4:7], v4, s[2:3] offset:16
	ds_load_2addr_b64 v[40:43], v132 offset1:55
	ds_load_2addr_b64 v[36:39], v132 offset0:110 offset1:165
	ds_load_b64 v[67:68], v132 offset:6160
	ds_load_2addr_b64 v[44:47], v84 offset0:74 offset1:129
	ds_load_2addr_b64 v[48:51], v84 offset0:184 offset1:239
	;; [unrolled: 1-line block ×3, first 2 shown]
	v_and_b32_e32 v64, 0xffff, v60
	v_and_b32_e32 v66, 0xffff, v62
	v_lshlrev_b32_e32 v54, 5, v133
	s_delay_alu instid0(VALU_DEP_2)
	v_mul_u32_u24_e32 v75, 55, v66
	s_wait_loadcnt_dscnt 0x502
	v_mul_f32_e32 v81, v46, v27
	s_wait_loadcnt_dscnt 0x400
	v_mul_f32_e32 v87, v58, v19
	v_mul_u32_u24_e32 v73, 55, v64
	v_mul_f32_e32 v80, v47, v27
	v_dual_mul_f32 v88, v57, v19 :: v_dual_fmac_f32 v81, v47, v26
	s_delay_alu instid0(VALU_DEP_3)
	v_add_lshl_u32 v137, v73, v69, 3
	s_wait_loadcnt 0x2
	v_mul_f32_e32 v76, v56, v31
	v_mul_lo_u16 v63, 0x95, v59
	v_mul_f32_e32 v69, v39, v33
	v_mul_f32_e32 v73, v44, v35
	v_add_lshl_u32 v136, v74, v70, 3
	v_mul_f32_e32 v70, v38, v33
	v_lshrrev_b16 v72, 13, v63
	ds_load_2addr_b64 v[63:66], v83 offset0:38 offset1:93
	v_dual_mul_f32 v74, v51, v29 :: v_dual_add_nc_u32 v85, 0x400, v132
	v_mul_f32_e32 v77, v55, v31
	v_fma_f32 v38, v38, v32, -v69
	v_fmac_f32_e32 v70, v39, v32
	v_fma_f32 v69, v55, v30, -v76
	v_fmac_f32_e32 v88, v58, v18
	v_fmac_f32_e32 v77, v56, v30
	s_wait_loadcnt 0x1
	v_mul_f32_e32 v55, v49, v23
	v_mul_f32_e32 v58, v48, v23
	v_mul_lo_u16 v72, v72, 55
	s_delay_alu instid0(VALU_DEP_2)
	v_fmac_f32_e32 v58, v49, v22
	s_wait_dscnt 0x0
	v_mul_f32_e32 v86, v63, v17
	ds_load_2addr_b64 v[59:62], v85 offset0:92 offset1:147
	v_dual_mul_f32 v82, v64, v17 :: v_dual_fmac_f32 v73, v45, v34
	s_wait_loadcnt 0x0
	v_mul_f32_e32 v56, v66, v5
	v_fmac_f32_e32 v86, v64, v16
	v_mul_f32_e32 v64, v65, v5
	global_wb scope:SCOPE_SE
	s_wait_dscnt 0x0
	s_barrier_signal -1
	v_fma_f32 v65, v65, v4, -v56
	v_sub_f32_e32 v93, v81, v86
	s_barrier_wait -1
	global_inv scope:SCOPE_SE
	v_mul_f32_e32 v78, v60, v25
	v_add_lshl_u32 v135, v75, v71, 3
	v_mul_f32_e32 v71, v45, v35
	v_mul_f32_e32 v75, v50, v29
	;; [unrolled: 1-line block ×3, first 2 shown]
	v_fma_f32 v50, v50, v28, -v74
	v_fma_f32 v45, v46, v26, -v80
	;; [unrolled: 1-line block ×3, first 2 shown]
	v_fmac_f32_e32 v75, v51, v28
	v_fma_f32 v44, v59, v24, -v78
	v_fmac_f32_e32 v79, v60, v24
	v_fma_f32 v51, v63, v16, -v82
	v_fma_f32 v63, v57, v18, -v87
	v_dual_mul_f32 v46, v62, v21 :: v_dual_mul_f32 v57, v68, v7
	v_dual_mul_f32 v47, v61, v21 :: v_dual_fmac_f32 v64, v66, v4
	v_mul_f32_e32 v71, v67, v7
	s_delay_alu instid0(VALU_DEP_3) | instskip(SKIP_1) | instid1(VALU_DEP_4)
	v_fma_f32 v46, v61, v20, -v46
	v_fma_f32 v59, v48, v22, -v55
	v_dual_fmac_f32 v47, v62, v20 :: v_dual_sub_f32 v56, v69, v50
	v_fma_f32 v67, v67, v6, -v57
	v_dual_fmac_f32 v71, v68, v6 :: v_dual_sub_f32 v60, v70, v77
	v_add_f32_e32 v48, v40, v38
	v_dual_add_f32 v49, v39, v50 :: v_dual_sub_f32 v66, v50, v69
	v_dual_sub_f32 v61, v73, v75 :: v_dual_sub_f32 v62, v39, v38
	v_dual_sub_f32 v55, v38, v39 :: v_dual_add_f32 v68, v41, v70
	v_dual_add_f32 v57, v38, v69 :: v_dual_add_f32 v74, v73, v75
	v_dual_sub_f32 v76, v38, v69 :: v_dual_add_f32 v91, v45, v51
	v_dual_sub_f32 v78, v39, v50 :: v_dual_add_f32 v87, v70, v77
	v_sub_f32_e32 v80, v70, v73
	v_dual_sub_f32 v82, v77, v75 :: v_dual_sub_f32 v89, v75, v77
	v_dual_sub_f32 v70, v73, v70 :: v_dual_sub_f32 v95, v63, v51
	v_dual_add_f32 v90, v42, v44 :: v_dual_add_f32 v99, v43, v79
	v_dual_sub_f32 v94, v44, v45 :: v_dual_sub_f32 v97, v45, v44
	v_sub_f32_e32 v98, v51, v63
	v_dual_add_f32 v100, v81, v86 :: v_dual_add_f32 v141, v55, v56
	v_add_f32_e32 v138, v79, v88
	v_dual_sub_f32 v92, v79, v88 :: v_dual_sub_f32 v101, v44, v63
	v_dual_add_f32 v96, v44, v63 :: v_dual_sub_f32 v103, v79, v81
	v_dual_sub_f32 v102, v45, v51 :: v_dual_add_f32 v55, v90, v45
	v_dual_sub_f32 v104, v88, v86 :: v_dual_sub_f32 v79, v81, v79
	v_fma_f32 v38, -0.5, v49, v40
	v_fma_f32 v40, -0.5, v57, v40
	v_dual_add_f32 v142, v62, v66 :: v_dual_add_f32 v49, v68, v73
	v_add_f32_e32 v68, v80, v82
	v_dual_add_f32 v70, v70, v89 :: v_dual_add_f32 v57, v36, v46
	v_fma_f32 v44, -0.5, v91, v42
	v_add_f32_e32 v73, v94, v95
	v_sub_f32_e32 v140, v86, v88
	v_fma_f32 v45, -0.5, v100, v43
	v_dual_fmac_f32 v43, -0.5, v138 :: v_dual_add_f32 v48, v48, v39
	v_fma_f32 v39, -0.5, v74, v41
	s_delay_alu instid0(VALU_DEP_4)
	v_add_f32_e32 v79, v79, v140
	v_fma_f32 v41, -0.5, v87, v41
	v_dual_add_f32 v74, v97, v98 :: v_dual_add_f32 v89, v46, v67
	v_dual_add_f32 v62, v59, v65 :: v_dual_add_f32 v95, v58, v64
	v_dual_sub_f32 v66, v46, v59 :: v_dual_sub_f32 v87, v67, v65
	v_add_f32_e32 v94, v37, v47
	v_add_f32_e32 v100, v47, v71
	v_fma_f32 v42, -0.5, v96, v42
	v_dual_add_f32 v56, v99, v81 :: v_dual_sub_f32 v91, v65, v67
	v_dual_add_f32 v80, v103, v104 :: v_dual_sub_f32 v103, v58, v47
	v_dual_sub_f32 v81, v47, v71 :: v_dual_sub_f32 v82, v58, v64
	v_sub_f32_e32 v97, v59, v65
	v_dual_sub_f32 v90, v59, v46 :: v_dual_add_f32 v75, v49, v75
	v_sub_f32_e32 v96, v46, v67
	v_dual_sub_f32 v98, v47, v58 :: v_dual_fmamk_f32 v49, v78, 0x3f737871, v41
	v_dual_sub_f32 v99, v71, v64 :: v_dual_add_f32 v138, v48, v50
	v_fmamk_f32 v46, v60, 0x3f737871, v38
	v_fmac_f32_e32 v38, 0xbf737871, v60
	v_dual_fmamk_f32 v48, v61, 0xbf737871, v40 :: v_dual_add_f32 v87, v66, v87
	v_dual_fmac_f32 v40, 0x3f737871, v61 :: v_dual_add_f32 v143, v57, v59
	v_fmamk_f32 v47, v76, 0xbf737871, v39
	v_dual_fmac_f32 v41, 0xbf737871, v78 :: v_dual_add_f32 v140, v55, v51
	v_fmamk_f32 v50, v92, 0x3f737871, v44
	v_fma_f32 v57, -0.5, v62, v36
	v_fma_f32 v36, -0.5, v89, v36
	v_add_f32_e32 v89, v90, v91
	v_dual_add_f32 v66, v94, v58 :: v_dual_fmac_f32 v41, 0x3f167918, v76
	v_fmac_f32_e32 v39, 0x3f737871, v76
	v_fma_f32 v58, -0.5, v95, v37
	v_fmac_f32_e32 v37, -0.5, v100
	v_dual_fmamk_f32 v51, v101, 0xbf737871, v45 :: v_dual_sub_f32 v104, v64, v71
	v_fmamk_f32 v55, v93, 0xbf737871, v42
	v_dual_fmac_f32 v44, 0xbf737871, v92 :: v_dual_add_f32 v59, v138, v69
	s_delay_alu instid0(VALU_DEP_3)
	v_dual_fmac_f32 v42, 0x3f737871, v93 :: v_dual_add_f32 v91, v103, v104
	v_dual_add_f32 v86, v56, v86 :: v_dual_fmac_f32 v49, 0xbf167918, v76
	v_fmac_f32_e32 v45, 0x3f737871, v101
	v_fmamk_f32 v56, v102, 0x3f737871, v43
	v_fmac_f32_e32 v43, 0xbf737871, v102
	v_dual_fmac_f32 v46, 0x3f167918, v61 :: v_dual_fmac_f32 v39, 0x3f167918, v78
	v_dual_fmac_f32 v38, 0xbf167918, v61 :: v_dual_fmac_f32 v51, 0xbf167918, v102
	;; [unrolled: 1-line block ×3, first 2 shown]
	v_dual_fmac_f32 v40, 0xbf167918, v60 :: v_dual_add_f32 v69, v143, v65
	v_dual_add_f32 v60, v75, v77 :: v_dual_fmac_f32 v55, 0x3f167918, v92
	v_dual_add_f32 v61, v140, v63 :: v_dual_fmac_f32 v50, 0x3f167918, v93
	v_add_f32_e32 v75, v66, v64
	v_fmamk_f32 v63, v81, 0x3f737871, v57
	v_fmamk_f32 v65, v82, 0xbf737871, v36
	v_fmac_f32_e32 v36, 0x3f737871, v82
	v_dual_add_f32 v90, v98, v99 :: v_dual_fmac_f32 v47, 0xbf167918, v78
	v_dual_fmac_f32 v57, 0xbf737871, v81 :: v_dual_fmamk_f32 v64, v96, 0xbf737871, v58
	v_fmac_f32_e32 v58, 0x3f737871, v96
	v_fmamk_f32 v66, v97, 0x3f737871, v37
	v_fmac_f32_e32 v37, 0xbf737871, v97
	s_delay_alu instid0(VALU_DEP_4)
	v_dual_fmac_f32 v42, 0xbf167918, v92 :: v_dual_fmac_f32 v57, 0xbf167918, v82
	v_dual_add_f32 v62, v86, v88 :: v_dual_fmac_f32 v43, 0x3f167918, v101
	v_fmac_f32_e32 v56, 0xbf167918, v101
	v_dual_fmac_f32 v63, 0x3f167918, v82 :: v_dual_fmac_f32 v58, 0x3f167918, v97
	v_fmac_f32_e32 v36, 0xbf167918, v81
	v_dual_fmac_f32 v44, 0xbf167918, v93 :: v_dual_add_f32 v67, v69, v67
	v_dual_fmac_f32 v46, 0x3e9e377a, v141 :: v_dual_fmac_f32 v47, 0x3e9e377a, v68
	v_dual_fmac_f32 v38, 0x3e9e377a, v141 :: v_dual_fmac_f32 v39, 0x3e9e377a, v68
	v_dual_add_f32 v68, v75, v71 :: v_dual_fmac_f32 v65, 0x3f167918, v81
	v_fmac_f32_e32 v64, 0xbf167918, v97
	v_fmac_f32_e32 v66, 0xbf167918, v96
	v_fmac_f32_e32 v37, 0x3f167918, v96
	v_dual_fmac_f32 v48, 0x3e9e377a, v142 :: v_dual_fmac_f32 v51, 0x3e9e377a, v80
	v_dual_fmac_f32 v40, 0x3e9e377a, v142 :: v_dual_fmac_f32 v45, 0x3e9e377a, v80
	v_dual_fmac_f32 v49, 0x3e9e377a, v70 :: v_dual_fmac_f32 v50, 0x3e9e377a, v73
	v_dual_fmac_f32 v41, 0x3e9e377a, v70 :: v_dual_fmac_f32 v44, 0x3e9e377a, v73
	v_dual_fmac_f32 v55, 0x3e9e377a, v74 :: v_dual_fmac_f32 v56, 0x3e9e377a, v79
	v_dual_fmac_f32 v42, 0x3e9e377a, v74 :: v_dual_fmac_f32 v43, 0x3e9e377a, v79
	v_dual_fmac_f32 v63, 0x3e9e377a, v87 :: v_dual_fmac_f32 v36, 0x3e9e377a, v89
	v_dual_fmac_f32 v57, 0x3e9e377a, v87 :: v_dual_fmac_f32 v64, 0x3e9e377a, v90
	v_dual_fmac_f32 v65, 0x3e9e377a, v89 :: v_dual_fmac_f32 v58, 0x3e9e377a, v90
	v_fmac_f32_e32 v66, 0x3e9e377a, v91
	v_fmac_f32_e32 v37, 0x3e9e377a, v91
	ds_store_2addr_b64 v137, v[59:60], v[46:47] offset1:11
	ds_store_2addr_b64 v137, v[48:49], v[40:41] offset0:22 offset1:33
	ds_store_b64 v137, v[38:39] offset:352
	ds_store_2addr_b64 v136, v[61:62], v[50:51] offset1:11
	ds_store_2addr_b64 v136, v[55:56], v[42:43] offset0:22 offset1:33
	ds_store_b64 v136, v[44:45] offset:352
	ds_store_2addr_b64 v135, v[67:68], v[63:64] offset1:11
	ds_store_2addr_b64 v135, v[65:66], v[36:37] offset0:22 offset1:33
	ds_store_b64 v135, v[57:58] offset:352
	v_sub_nc_u16 v36, v53, v72
	global_wb scope:SCOPE_SE
	s_wait_dscnt 0x0
	s_barrier_signal -1
	s_barrier_wait -1
	global_inv scope:SCOPE_SE
	s_clause 0x1
	global_load_b128 v[48:51], v54, s[2:3] offset:352
	global_load_b128 v[40:43], v54, s[2:3] offset:368
	v_and_b32_e32 v68, 0xff, v36
	v_lshlrev_b32_e32 v55, 4, v133
	v_add_co_u32 v54, s0, s2, v54
	s_wait_alu 0xf1ff
	v_add_co_ci_u32_e64 v76, null, s3, 0, s0
	v_lshlrev_b32_e32 v36, 5, v68
	s_clause 0x1
	global_load_b128 v[44:47], v36, s[2:3] offset:352
	global_load_b128 v[36:39], v36, s[2:3] offset:368
	ds_load_2addr_b64 v[56:59], v132 offset0:110 offset1:165
	ds_load_2addr_b64 v[60:63], v84 offset0:74 offset1:129
	;; [unrolled: 1-line block ×3, first 2 shown]
	v_lshlrev_b32_e32 v138, 3, v68
	ds_load_2addr_b64 v[68:71], v83 offset0:148 offset1:203
	ds_load_2addr_b64 v[72:75], v85 offset0:92 offset1:147
	v_sub_co_u32 v80, s0, v54, v55
	s_wait_alu 0xf1ff
	v_subrev_co_ci_u32_e64 v81, s0, 0, v76, s0
	ds_load_2addr_b64 v[76:79], v83 offset0:38 offset1:93
	ds_load_2addr_b64 v[86:89], v132 offset1:55
	ds_load_b64 v[90:91], v132 offset:6160
	v_add_nc_u32_e32 v54, 0x1000, v138
	global_wb scope:SCOPE_SE
	s_wait_loadcnt_dscnt 0x0
	s_barrier_signal -1
	s_barrier_wait -1
	global_inv scope:SCOPE_SE
	s_add_nc_u64 s[0:1], s[12:13], 0x19c8
	v_lshlrev_b32_e32 v53, 4, v53
	v_mul_f32_e32 v82, v59, v49
	v_dual_mul_f32 v92, v58, v49 :: v_dual_mul_f32 v93, v61, v51
	v_mul_f32_e32 v95, v67, v41
	v_mul_f32_e32 v97, v69, v43
	;; [unrolled: 1-line block ×5, first 2 shown]
	v_fma_f32 v58, v58, v48, -v82
	v_mul_f32_e32 v100, v72, v49
	v_fma_f32 v66, v66, v40, -v95
	v_fma_f32 v82, v68, v42, -v97
	v_mul_f32_e32 v145, v64, v47
	v_dual_mul_f32 v149, v90, v39 :: v_dual_fmac_f32 v92, v59, v48
	v_fma_f32 v59, v60, v50, -v93
	v_dual_mul_f32 v143, v74, v45 :: v_dual_mul_f32 v98, v68, v43
	v_mul_f32_e32 v99, v73, v49
	v_mul_f32_e32 v101, v63, v51
	v_dual_mul_f32 v102, v62, v51 :: v_dual_fmac_f32 v145, v65, v46
	v_dual_mul_f32 v103, v77, v41 :: v_dual_mul_f32 v140, v71, v43
	v_mul_f32_e32 v147, v78, v37
	v_dual_mul_f32 v104, v76, v41 :: v_dual_fmac_f32 v141, v71, v42
	v_dual_fmac_f32 v96, v67, v40 :: v_dual_sub_f32 v71, v66, v82
	v_dual_sub_f32 v67, v58, v59 :: v_dual_fmac_f32 v94, v61, v50
	v_dual_mul_f32 v144, v65, v47 :: v_dual_fmac_f32 v149, v91, v38
	v_mul_f32_e32 v148, v91, v39
	v_dual_fmac_f32 v100, v73, v48 :: v_dual_add_f32 v65, v59, v66
	v_fmac_f32_e32 v143, v75, v44
	v_add_f32_e32 v73, v87, v92
	v_dual_mul_f32 v146, v79, v37 :: v_dual_sub_f32 v91, v94, v96
	v_fmac_f32_e32 v98, v69, v42
	v_mul_f32_e32 v142, v75, v45
	v_fma_f32 v60, v72, v48, -v99
	v_fma_f32 v62, v62, v50, -v101
	;; [unrolled: 1-line block ×3, first 2 shown]
	v_fmac_f32_e32 v147, v79, v36
	v_dual_fmac_f32 v104, v77, v40 :: v_dual_sub_f32 v95, v58, v82
	v_dual_add_f32 v75, v94, v96 :: v_dual_fmac_f32 v102, v63, v50
	v_sub_f32_e32 v77, v98, v96
	v_add_f32_e32 v63, v86, v58
	v_fma_f32 v93, v70, v42, -v140
	v_fma_f32 v64, v64, v46, -v144
	v_sub_f32_e32 v79, v92, v98
	v_fma_f32 v61, v74, v44, -v142
	v_fma_f32 v74, v78, v36, -v146
	v_dual_sub_f32 v68, v82, v66 :: v_dual_add_f32 v101, v88, v60
	v_add_f32_e32 v69, v58, v82
	v_fma_f32 v90, v90, v38, -v148
	v_dual_add_f32 v78, v92, v98 :: v_dual_sub_f32 v155, v62, v72
	v_dual_sub_f32 v70, v59, v58 :: v_dual_add_f32 v103, v62, v72
	v_dual_sub_f32 v76, v92, v94 :: v_dual_add_f32 v153, v102, v104
	s_delay_alu instid0(VALU_DEP_4)
	v_dual_add_f32 v148, v60, v93 :: v_dual_sub_f32 v165, v90, v74
	v_dual_add_f32 v152, v89, v100 :: v_dual_add_f32 v161, v64, v74
	v_dual_add_f32 v158, v100, v141 :: v_dual_sub_f32 v171, v61, v90
	v_dual_sub_f32 v97, v59, v66 :: v_dual_sub_f32 v92, v94, v92
	v_dual_sub_f32 v99, v96, v98 :: v_dual_sub_f32 v142, v102, v104
	;; [unrolled: 1-line block ×5, first 2 shown]
	v_dual_sub_f32 v154, v60, v93 :: v_dual_add_f32 v169, v57, v143
	v_dual_sub_f32 v156, v100, v102 :: v_dual_sub_f32 v173, v143, v145
	v_add_f32_e32 v160, v56, v61
	v_dual_sub_f32 v164, v61, v64 :: v_dual_add_f32 v175, v143, v149
	v_dual_add_f32 v166, v61, v90 :: v_dual_add_f32 v177, v63, v59
	v_add_f32_e32 v170, v145, v147
	v_sub_f32_e32 v176, v147, v149
	v_dual_add_f32 v178, v67, v68 :: v_dual_add_f32 v67, v73, v94
	v_fma_f32 v59, -0.5, v75, v87
	v_dual_sub_f32 v150, v62, v60 :: v_dual_sub_f32 v159, v104, v141
	v_fma_f32 v58, -0.5, v65, v86
	v_fma_f32 v60, -0.5, v69, v86
	v_dual_sub_f32 v100, v102, v100 :: v_dual_sub_f32 v167, v64, v61
	v_fma_f32 v61, -0.5, v78, v87
	v_dual_sub_f32 v162, v143, v149 :: v_dual_add_f32 v179, v70, v71
	v_dual_sub_f32 v143, v145, v143 :: v_dual_sub_f32 v168, v74, v90
	v_dual_add_f32 v75, v160, v64 :: v_dual_sub_f32 v174, v149, v147
	v_add_f32_e32 v71, v152, v102
	v_add_f32_e32 v70, v101, v62
	v_fma_f32 v62, -0.5, v103, v88
	v_add_f32_e32 v103, v164, v165
	v_fma_f32 v88, -0.5, v148, v88
	v_fma_f32 v63, -0.5, v153, v89
	v_fmac_f32_e32 v89, -0.5, v158
	v_dual_sub_f32 v172, v64, v74 :: v_dual_add_f32 v101, v150, v151
	v_add_f32_e32 v94, v76, v77
	v_dual_add_f32 v92, v92, v99 :: v_dual_add_f32 v77, v169, v145
	v_add_f32_e32 v99, v144, v146
	v_add_f32_e32 v102, v156, v157
	v_fma_f32 v64, -0.5, v161, v56
	v_fma_f32 v65, -0.5, v170, v57
	v_dual_fmac_f32 v57, -0.5, v175 :: v_dual_add_f32 v78, v177, v66
	v_add_f32_e32 v86, v67, v96
	v_fmamk_f32 v67, v95, 0xbf737871, v59
	v_fma_f32 v56, -0.5, v166, v56
	v_dual_fmamk_f32 v66, v79, 0x3f737871, v58 :: v_dual_fmamk_f32 v69, v97, 0x3f737871, v61
	v_dual_fmamk_f32 v68, v91, 0xbf737871, v60 :: v_dual_add_f32 v87, v70, v72
	v_dual_fmac_f32 v58, 0xbf737871, v79 :: v_dual_fmac_f32 v61, 0xbf737871, v97
	v_fmac_f32_e32 v60, 0x3f737871, v91
	v_dual_add_f32 v144, v167, v168 :: v_dual_fmac_f32 v59, 0x3f737871, v95
	v_dual_fmamk_f32 v70, v140, 0x3f737871, v62 :: v_dual_fmamk_f32 v73, v155, 0x3f737871, v89
	v_dual_fmac_f32 v62, 0xbf737871, v140 :: v_dual_fmac_f32 v89, 0xbf737871, v155
	v_fmamk_f32 v72, v142, 0xbf737871, v88
	v_dual_add_f32 v96, v71, v104 :: v_dual_fmamk_f32 v71, v154, 0xbf737871, v63
	v_fmac_f32_e32 v88, 0x3f737871, v142
	v_fmac_f32_e32 v63, 0x3f737871, v154
	v_add_f32_e32 v104, v75, v74
	v_dual_add_f32 v146, v77, v147 :: v_dual_fmac_f32 v67, 0xbf167918, v97
	v_fmamk_f32 v75, v171, 0xbf737871, v65
	v_fmac_f32_e32 v65, 0x3f737871, v171
	v_dual_fmamk_f32 v77, v172, 0x3f737871, v57 :: v_dual_fmamk_f32 v74, v162, 0x3f737871, v64
	v_fmac_f32_e32 v64, 0xbf737871, v162
	v_fmamk_f32 v76, v163, 0xbf737871, v56
	v_fmac_f32_e32 v56, 0x3f737871, v163
	v_fmac_f32_e32 v57, 0xbf737871, v172
	v_dual_fmac_f32 v66, 0x3f167918, v91 :: v_dual_fmac_f32 v89, 0x3f167918, v154
	v_dual_fmac_f32 v68, 0x3f167918, v79 :: v_dual_fmac_f32 v65, 0x3f167918, v172
	;; [unrolled: 1-line block ×4, first 2 shown]
	v_fmac_f32_e32 v69, 0xbf167918, v95
	v_dual_fmac_f32 v61, 0x3f167918, v95 :: v_dual_fmac_f32 v70, 0x3f167918, v142
	v_dual_add_f32 v78, v78, v82 :: v_dual_fmac_f32 v59, 0x3f167918, v97
	v_dual_add_f32 v100, v100, v159 :: v_dual_add_f32 v143, v143, v176
	v_dual_fmac_f32 v62, 0xbf167918, v142 :: v_dual_fmac_f32 v71, 0xbf167918, v155
	v_dual_fmac_f32 v72, 0x3f167918, v140 :: v_dual_fmac_f32 v63, 0x3f167918, v155
	v_dual_add_f32 v145, v173, v174 :: v_dual_fmac_f32 v88, 0xbf167918, v140
	v_fmac_f32_e32 v77, 0xbf167918, v171
	v_dual_add_f32 v91, v146, v149 :: v_dual_fmac_f32 v64, 0xbf167918, v163
	v_dual_add_f32 v79, v86, v98 :: v_dual_add_f32 v86, v87, v93
	v_add_f32_e32 v87, v96, v141
	v_dual_add_f32 v90, v104, v90 :: v_dual_fmac_f32 v57, 0x3f167918, v171
	v_fmac_f32_e32 v74, 0x3f167918, v163
	v_fmac_f32_e32 v76, 0x3f167918, v162
	;; [unrolled: 1-line block ×3, first 2 shown]
	v_dual_fmac_f32 v66, 0x3e9e377a, v178 :: v_dual_fmac_f32 v69, 0x3e9e377a, v92
	v_dual_fmac_f32 v68, 0x3e9e377a, v179 :: v_dual_fmac_f32 v67, 0x3e9e377a, v94
	;; [unrolled: 1-line block ×12, first 2 shown]
	ds_store_2addr_b64 v132, v[78:79], v[66:67] offset1:55
	ds_store_2addr_b64 v132, v[68:69], v[60:61] offset0:110 offset1:165
	ds_store_2addr_b64 v85, v[58:59], v[86:87] offset0:92 offset1:147
	;; [unrolled: 1-line block ×6, first 2 shown]
	ds_store_b64 v138, v[64:65] offset:6160
	global_wb scope:SCOPE_SE
	s_wait_dscnt 0x0
	s_barrier_signal -1
	s_barrier_wait -1
	global_inv scope:SCOPE_SE
	s_clause 0x2
	global_load_b128 v[68:71], v[80:81], off offset:2112
	global_load_b128 v[64:67], v52, s[2:3] offset:2112
	global_load_b128 v[60:63], v53, s[2:3] offset:2112
	v_add_nc_u32_e32 v52, 0xa50, v55
	v_add_nc_u32_e32 v53, 0xdc0, v55
	s_clause 0x1
	global_load_b128 v[56:59], v52, s[2:3] offset:2112
	global_load_b128 v[52:55], v53, s[2:3] offset:2112
	ds_load_2addr_b64 v[76:79], v85 offset0:92 offset1:147
	ds_load_2addr_b64 v[86:89], v83 offset0:38 offset1:93
	;; [unrolled: 1-line block ×5, first 2 shown]
	ds_load_2addr_b64 v[140:143], v132 offset1:55
	ds_load_b64 v[80:81], v132 offset:6160
	ds_load_2addr_b64 v[72:75], v132 offset0:110 offset1:165
	s_wait_loadcnt_dscnt 0x407
	v_mul_f32_e32 v82, v79, v69
	s_wait_dscnt 0x6
	v_dual_mul_f32 v102, v78, v69 :: v_dual_mul_f32 v103, v87, v71
	v_mul_f32_e32 v104, v86, v71
	s_wait_loadcnt_dscnt 0x204
	v_dual_mul_f32 v144, v91, v65 :: v_dual_mul_f32 v151, v94, v63
	v_dual_mul_f32 v145, v90, v65 :: v_dual_mul_f32 v146, v89, v67
	;; [unrolled: 1-line block ×3, first 2 shown]
	s_wait_loadcnt_dscnt 0x1
	v_mul_f32_e32 v159, v80, v55
	v_dual_mul_f32 v149, v92, v61 :: v_dual_mul_f32 v150, v95, v63
	s_delay_alu instid0(VALU_DEP_3) | instskip(SKIP_1) | instid1(VALU_DEP_3)
	v_dual_fmac_f32 v147, v89, v66 :: v_dual_mul_f32 v152, v99, v57
	v_mul_f32_e32 v153, v98, v57
	v_fmac_f32_e32 v149, v93, v60
	v_dual_mul_f32 v154, v97, v59 :: v_dual_fmac_f32 v151, v95, v62
	v_dual_mul_f32 v155, v96, v59 :: v_dual_mul_f32 v156, v101, v53
	s_delay_alu instid0(VALU_DEP_4)
	v_fmac_f32_e32 v153, v99, v56
	v_mul_f32_e32 v157, v100, v53
	v_fma_f32 v78, v78, v68, -v82
	v_mul_f32_e32 v158, v81, v55
	v_dual_fmac_f32 v102, v79, v68 :: v_dual_fmac_f32 v155, v97, v58
	v_fma_f32 v79, v86, v70, -v103
	v_dual_fmac_f32 v104, v87, v70 :: v_dual_fmac_f32 v157, v101, v52
	v_fma_f32 v82, v90, v64, -v144
	v_fmac_f32_e32 v145, v91, v64
	v_fma_f32 v90, v88, v66, -v146
	v_fma_f32 v86, v92, v60, -v148
	;; [unrolled: 1-line block ×6, first 2 shown]
	v_fmac_f32_e32 v159, v81, v54
	v_add_f32_e32 v81, v140, v78
	v_fma_f32 v80, v80, v54, -v158
	v_dual_add_f32 v89, v78, v79 :: v_dual_add_f32 v98, v143, v145
	s_wait_dscnt 0x0
	v_dual_add_f32 v93, v102, v104 :: v_dual_add_f32 v144, v73, v149
	v_dual_sub_f32 v97, v102, v104 :: v_dual_add_f32 v100, v145, v147
	v_dual_add_f32 v91, v141, v102 :: v_dual_add_f32 v102, v86, v92
	v_dual_add_f32 v96, v82, v90 :: v_dual_sub_f32 v99, v145, v147
	v_dual_add_f32 v145, v149, v151 :: v_dual_add_f32 v152, v75, v153
	v_dual_add_f32 v95, v142, v82 :: v_dual_sub_f32 v150, v153, v155
	v_dual_sub_f32 v82, v82, v90 :: v_dual_sub_f32 v103, v149, v151
	v_dual_add_f32 v148, v74, v87 :: v_dual_add_f32 v149, v87, v94
	v_dual_add_f32 v153, v153, v155 :: v_dual_sub_f32 v154, v87, v94
	v_sub_f32_e32 v78, v78, v79
	v_dual_add_f32 v156, v76, v88 :: v_dual_add_f32 v161, v77, v157
	v_add_f32_e32 v158, v88, v80
	v_dual_sub_f32 v160, v157, v159 :: v_dual_add_f32 v87, v91, v104
	v_dual_add_f32 v157, v157, v159 :: v_dual_sub_f32 v162, v88, v80
	v_add_f32_e32 v91, v98, v147
	v_fma_f32 v88, -0.5, v89, v140
	v_fma_f32 v89, -0.5, v93, v141
	v_dual_add_f32 v101, v72, v86 :: v_dual_sub_f32 v146, v86, v92
	v_dual_add_f32 v86, v81, v79 :: v_dual_fmac_f32 v143, -0.5, v100
	v_fma_f32 v142, -0.5, v96, v142
	v_fma_f32 v72, -0.5, v102, v72
	;; [unrolled: 1-line block ×3, first 2 shown]
	v_dual_add_f32 v94, v148, v94 :: v_dual_fmac_f32 v75, -0.5, v153
	v_fma_f32 v74, -0.5, v149, v74
	v_fma_f32 v76, -0.5, v158, v76
	v_dual_fmac_f32 v77, -0.5, v157 :: v_dual_fmamk_f32 v96, v97, 0x3f5db3d7, v88
	v_dual_fmac_f32 v88, 0xbf5db3d7, v97 :: v_dual_fmamk_f32 v97, v78, 0xbf5db3d7, v89
	v_dual_fmac_f32 v89, 0x3f5db3d7, v78 :: v_dual_fmamk_f32 v98, v99, 0x3f5db3d7, v142
	v_dual_add_f32 v90, v95, v90 :: v_dual_add_f32 v93, v144, v151
	v_dual_add_f32 v92, v101, v92 :: v_dual_add_f32 v95, v152, v155
	v_dual_fmac_f32 v142, 0xbf5db3d7, v99 :: v_dual_fmamk_f32 v99, v82, 0xbf5db3d7, v143
	v_dual_fmac_f32 v143, 0x3f5db3d7, v82 :: v_dual_fmamk_f32 v100, v103, 0x3f5db3d7, v72
	;; [unrolled: 1-line block ×5, first 2 shown]
	v_dual_add_f32 v79, v156, v80 :: v_dual_add_f32 v80, v161, v159
	v_fmac_f32_e32 v75, 0x3f5db3d7, v154
	v_fmamk_f32 v81, v160, 0x3f5db3d7, v76
	v_fmac_f32_e32 v76, 0xbf5db3d7, v160
	v_fmamk_f32 v82, v162, 0xbf5db3d7, v77
	v_fmac_f32_e32 v77, 0x3f5db3d7, v162
	ds_store_b64 v132, v[96:97] offset:2200
	ds_store_b64 v132, v[88:89] offset:4400
	ds_store_2addr_b64 v132, v[86:87], v[90:91] offset1:55
	ds_store_2addr_b64 v84, v[98:99], v[100:101] offset0:74 offset1:129
	ds_store_2addr_b64 v83, v[142:143], v[72:73] offset0:93 offset1:148
	;; [unrolled: 1-line block ×3, first 2 shown]
	ds_store_b64 v132, v[74:75] offset:5720
	ds_store_b64 v132, v[79:80] offset:1760
	ds_store_2addr_b64 v84, v[102:103], v[81:82] offset0:184 offset1:239
	ds_store_b64 v132, v[76:77] offset:6160
	global_wb scope:SCOPE_SE
	s_wait_dscnt 0x0
	s_barrier_signal -1
	s_barrier_wait -1
	global_inv scope:SCOPE_SE
	s_clause 0xa
	global_load_b64 v[72:73], v[105:106], off offset:6600
	global_load_b64 v[90:91], v132, s[0:1] offset:600
	global_load_b64 v[102:103], v132, s[0:1] offset:1200
	;; [unrolled: 1-line block ×10, first 2 shown]
	ds_load_2addr_b64 v[86:89], v132 offset1:75
	s_wait_loadcnt_dscnt 0xa00
	v_mul_f32_e32 v78, v87, v73
	s_wait_loadcnt 0x9
	v_dual_mul_f32 v92, v86, v73 :: v_dual_mul_f32 v93, v89, v91
	v_mul_f32_e32 v73, v88, v91
	s_delay_alu instid0(VALU_DEP_3) | instskip(NEXT) | instid1(VALU_DEP_3)
	v_fma_f32 v91, v86, v72, -v78
	v_fmac_f32_e32 v92, v87, v72
	s_delay_alu instid0(VALU_DEP_4) | instskip(NEXT) | instid1(VALU_DEP_4)
	v_fma_f32 v72, v88, v90, -v93
	v_fmac_f32_e32 v73, v89, v90
	ds_store_2addr_b64 v132, v[91:92], v[72:73] offset1:75
	v_add_nc_u32_e32 v72, 0xc00, v132
	ds_load_2addr_b64 v[86:89], v132 offset0:150 offset1:225
	ds_load_2addr_b64 v[90:93], v84 offset0:44 offset1:119
	;; [unrolled: 1-line block ×4, first 2 shown]
	ds_load_b64 v[156:157], v132 offset:6000
	s_wait_loadcnt_dscnt 0x704
	v_dual_mul_f32 v73, v87, v103 :: v_dual_mul_f32 v78, v89, v141
	v_dual_mul_f32 v104, v86, v103 :: v_dual_mul_f32 v159, v88, v141
	s_wait_loadcnt_dscnt 0x503
	v_dual_mul_f32 v160, v91, v143 :: v_dual_mul_f32 v161, v93, v145
	s_delay_alu instid0(VALU_DEP_2)
	v_dual_mul_f32 v141, v90, v143 :: v_dual_fmac_f32 v104, v87, v102
	s_wait_loadcnt_dscnt 0x402
	v_dual_mul_f32 v143, v92, v145 :: v_dual_mul_f32 v162, v95, v147
	v_mul_f32_e32 v145, v94, v147
	s_wait_loadcnt_dscnt 0x201
	v_dual_mul_f32 v163, v97, v149 :: v_dual_mul_f32 v164, v99, v151
	s_wait_loadcnt_dscnt 0x0
	v_dual_mul_f32 v147, v96, v149 :: v_dual_mul_f32 v166, v157, v155
	v_mul_f32_e32 v149, v98, v151
	v_mul_f32_e32 v165, v101, v153
	;; [unrolled: 1-line block ×4, first 2 shown]
	v_fma_f32 v103, v86, v102, -v73
	v_fma_f32 v158, v88, v140, -v78
	v_fmac_f32_e32 v159, v89, v140
	v_fma_f32 v140, v90, v142, -v160
	v_fmac_f32_e32 v141, v91, v142
	;; [unrolled: 2-line block ×8, first 2 shown]
	ds_store_2addr_b64 v132, v[103:104], v[158:159] offset0:150 offset1:225
	ds_store_2addr_b64 v84, v[140:141], v[142:143] offset0:44 offset1:119
	;; [unrolled: 1-line block ×4, first 2 shown]
	ds_store_b64 v132, v[152:153] offset:6000
	s_and_saveexec_b32 s2, vcc_lo
	s_cbranch_execz .LBB0_9
; %bb.8:
	s_wait_alu 0xfffe
	v_add_co_u32 v86, s0, s0, v132
	s_wait_alu 0xf1ff
	v_add_co_ci_u32_e64 v87, null, s1, 0, s0
	s_clause 0xa
	global_load_b64 v[102:103], v[86:87], off offset:440
	global_load_b64 v[144:145], v[86:87], off offset:1040
	;; [unrolled: 1-line block ×11, first 2 shown]
	ds_load_2addr_b64 v[86:89], v132 offset0:55 offset1:130
	ds_load_2addr_b64 v[90:93], v85 offset0:77 offset1:152
	ds_load_2addr_b64 v[94:97], v84 offset0:99 offset1:174
	ds_load_2addr_b64 v[98:101], v72 offset0:121 offset1:196
	ds_load_2addr_b64 v[140:143], v83 offset0:143 offset1:218
	ds_load_b64 v[164:165], v132 offset:6440
	s_wait_loadcnt_dscnt 0x905
	v_dual_mul_f32 v73, v87, v103 :: v_dual_mul_f32 v78, v89, v145
	v_dual_mul_f32 v104, v86, v103 :: v_dual_mul_f32 v167, v88, v145
	s_wait_loadcnt_dscnt 0x704
	v_dual_mul_f32 v168, v91, v147 :: v_dual_mul_f32 v169, v93, v149
	s_delay_alu instid0(VALU_DEP_2)
	v_dual_mul_f32 v145, v90, v147 :: v_dual_fmac_f32 v104, v87, v102
	s_wait_loadcnt_dscnt 0x603
	v_dual_mul_f32 v147, v92, v149 :: v_dual_mul_f32 v170, v95, v151
	v_mul_f32_e32 v149, v94, v151
	s_wait_loadcnt_dscnt 0x402
	v_dual_mul_f32 v171, v97, v153 :: v_dual_mul_f32 v172, v99, v155
	s_wait_loadcnt_dscnt 0x201
	v_dual_mul_f32 v151, v96, v153 :: v_dual_mul_f32 v174, v141, v159
	v_mul_f32_e32 v153, v98, v155
	v_mul_f32_e32 v173, v101, v157
	s_wait_loadcnt_dscnt 0x0
	v_dual_mul_f32 v155, v100, v157 :: v_dual_mul_f32 v176, v165, v163
	v_mul_f32_e32 v157, v140, v159
	v_mul_f32_e32 v175, v143, v161
	v_mul_f32_e32 v159, v142, v161
	v_mul_f32_e32 v161, v164, v163
	v_fma_f32 v103, v86, v102, -v73
	v_fma_f32 v166, v88, v144, -v78
	v_fmac_f32_e32 v167, v89, v144
	v_fma_f32 v144, v90, v146, -v168
	v_fmac_f32_e32 v145, v91, v146
	;; [unrolled: 2-line block ×10, first 2 shown]
	ds_store_2addr_b64 v132, v[103:104], v[166:167] offset0:55 offset1:130
	ds_store_2addr_b64 v85, v[144:145], v[146:147] offset0:77 offset1:152
	;; [unrolled: 1-line block ×5, first 2 shown]
	ds_store_b64 v132, v[160:161] offset:6440
.LBB0_9:
	s_wait_alu 0xfffe
	s_or_b32 exec_lo, exec_lo, s2
	global_wb scope:SCOPE_SE
	s_wait_dscnt 0x0
	s_barrier_signal -1
	s_barrier_wait -1
	global_inv scope:SCOPE_SE
	ds_load_2addr_b64 v[101:104], v132 offset1:75
	ds_load_2addr_b64 v[93:96], v132 offset0:150 offset1:225
	ds_load_2addr_b64 v[85:88], v84 offset0:44 offset1:119
	;; [unrolled: 1-line block ×4, first 2 shown]
	ds_load_b64 v[72:73], v132 offset:6000
	s_and_saveexec_b32 s0, vcc_lo
	s_cbranch_execz .LBB0_11
; %bb.10:
	ds_load_2addr_b64 v[77:80], v132 offset0:55 offset1:130
	v_add_nc_u32_e32 v0, 0x400, v132
	v_add_nc_u32_e32 v1, 0x800, v132
	;; [unrolled: 1-line block ×3, first 2 shown]
	ds_load_2addr_b64 v[81:84], v0 offset0:77 offset1:152
	s_wait_dscnt 0x1
	v_dual_mov_b32 v75, v78 :: v_dual_add_nc_u32 v0, 0xc00, v132
	v_mov_b32_e32 v74, v77
	ds_load_b64 v[130:131], v132 offset:6440
	ds_load_2addr_b64 v[12:15], v1 offset0:99 offset1:174
	ds_load_2addr_b64 v[8:11], v0 offset0:121 offset1:196
	;; [unrolled: 1-line block ×3, first 2 shown]
	s_wait_dscnt 0x4
	v_dual_mov_b32 v76, v83 :: v_dual_mov_b32 v77, v84
.LBB0_11:
	s_wait_alu 0xfffe
	s_or_b32 exec_lo, exec_lo, s0
	s_wait_dscnt 0x5
	v_dual_add_f32 v78, v101, v103 :: v_dual_add_f32 v83, v102, v104
	s_wait_dscnt 0x0
	v_add_f32_e32 v84, v72, v103
	v_dual_sub_f32 v140, v104, v73 :: v_dual_sub_f32 v103, v103, v72
	s_delay_alu instid0(VALU_DEP_3) | instskip(SKIP_1) | instid1(VALU_DEP_3)
	v_dual_add_f32 v78, v78, v93 :: v_dual_add_f32 v83, v83, v94
	v_sub_f32_e32 v156, v94, v100
	v_dual_mul_f32 v141, 0xbf0a6770, v140 :: v_dual_add_f32 v94, v100, v94
	s_delay_alu instid0(VALU_DEP_3)
	v_dual_add_f32 v78, v78, v95 :: v_dual_add_f32 v83, v83, v96
	v_add_f32_e32 v104, v73, v104
	v_mul_f32_e32 v143, 0xbf68dda4, v140
	global_wb scope:SCOPE_SE
	v_dual_add_f32 v78, v78, v85 :: v_dual_add_f32 v83, v83, v86
	v_dual_mul_f32 v142, 0x3f575c64, v104 :: v_dual_fmamk_f32 v147, v84, 0x3f575c64, v141
	s_delay_alu instid0(VALU_DEP_2) | instskip(NEXT) | instid1(VALU_DEP_3)
	v_dual_mul_f32 v145, 0xbf7d64f0, v140 :: v_dual_add_f32 v78, v78, v87
	v_add_f32_e32 v83, v83, v88
	s_delay_alu instid0(VALU_DEP_3) | instskip(SKIP_1) | instid1(VALU_DEP_3)
	v_dual_fmamk_f32 v148, v103, 0x3f0a6770, v142 :: v_dual_add_f32 v147, v101, v147
	v_fmac_f32_e32 v142, 0xbf0a6770, v103
	v_dual_mul_f32 v144, 0x3ed4b147, v104 :: v_dual_add_f32 v83, v83, v90
	v_dual_add_f32 v78, v78, v89 :: v_dual_fmamk_f32 v149, v84, 0x3ed4b147, v143
	v_fma_f32 v141, 0x3f575c64, v84, -v141
	s_delay_alu instid0(VALU_DEP_3) | instskip(NEXT) | instid1(VALU_DEP_3)
	v_fmamk_f32 v150, v103, 0x3f68dda4, v144
	v_dual_add_f32 v83, v83, v92 :: v_dual_add_f32 v78, v78, v91
	v_fmac_f32_e32 v144, 0xbf68dda4, v103
	v_dual_mul_f32 v146, 0xbe11bafb, v104 :: v_dual_fmamk_f32 v151, v84, 0xbe11bafb, v145
	s_delay_alu instid0(VALU_DEP_3) | instskip(SKIP_2) | instid1(VALU_DEP_3)
	v_dual_add_f32 v83, v83, v98 :: v_dual_add_f32 v78, v78, v97
	v_dual_add_f32 v141, v101, v141 :: v_dual_add_f32 v150, v102, v150
	v_fma_f32 v145, 0xbe11bafb, v84, -v145
	v_dual_add_f32 v83, v83, v100 :: v_dual_add_f32 v78, v78, v99
	v_fma_f32 v143, 0x3ed4b147, v84, -v143
	v_add_f32_e32 v142, v102, v142
	v_add_f32_e32 v100, v99, v93
	s_delay_alu instid0(VALU_DEP_4)
	v_dual_add_f32 v73, v83, v73 :: v_dual_add_f32 v72, v78, v72
	v_dual_add_f32 v78, v102, v144 :: v_dual_add_f32 v145, v101, v145
	v_dual_fmamk_f32 v83, v103, 0x3f7d64f0, v146 :: v_dual_add_f32 v144, v101, v151
	v_mul_f32_e32 v151, 0xbf4178ce, v140
	v_mul_f32_e32 v152, 0xbf27a4f4, v104
	v_dual_mul_f32 v104, 0xbf75a155, v104 :: v_dual_sub_f32 v93, v93, v99
	s_delay_alu instid0(VALU_DEP_4) | instskip(NEXT) | instid1(VALU_DEP_4)
	v_add_f32_e32 v83, v102, v83
	v_fmamk_f32 v153, v84, 0xbf27a4f4, v151
	v_fmac_f32_e32 v146, 0xbf7d64f0, v103
	v_fma_f32 v151, 0xbf27a4f4, v84, -v151
	v_dual_mul_f32 v140, 0xbe903f40, v140 :: v_dual_add_f32 v143, v101, v143
	s_delay_alu instid0(VALU_DEP_4) | instskip(SKIP_1) | instid1(VALU_DEP_4)
	v_add_f32_e32 v153, v101, v153
	v_fmamk_f32 v157, v103, 0x3e903f40, v104
	v_dual_add_f32 v151, v101, v151 :: v_dual_add_f32 v146, v102, v146
	s_delay_alu instid0(VALU_DEP_4) | instskip(SKIP_4) | instid1(VALU_DEP_4)
	v_fmamk_f32 v155, v84, 0xbf75a155, v140
	v_fmamk_f32 v154, v103, 0x3f4178ce, v152
	v_fmac_f32_e32 v152, 0xbf4178ce, v103
	v_fma_f32 v84, 0xbf75a155, v84, -v140
	v_fmac_f32_e32 v104, 0xbe903f40, v103
	v_dual_add_f32 v155, v101, v155 :: v_dual_add_f32 v154, v102, v154
	v_dual_add_f32 v148, v102, v148 :: v_dual_add_f32 v149, v101, v149
	s_delay_alu instid0(VALU_DEP_4) | instskip(NEXT) | instid1(VALU_DEP_4)
	v_dual_add_f32 v103, v102, v157 :: v_dual_add_f32 v84, v101, v84
	v_add_f32_e32 v101, v102, v104
	v_dual_add_f32 v152, v102, v152 :: v_dual_mul_f32 v99, 0x3ed4b147, v94
	v_mul_f32_e32 v140, 0xbf68dda4, v156
	s_barrier_signal -1
	s_barrier_wait -1
	global_inv scope:SCOPE_SE
	v_fmamk_f32 v102, v93, 0x3f68dda4, v99
	v_fmac_f32_e32 v99, 0xbf68dda4, v93
	v_fmamk_f32 v157, v100, 0x3ed4b147, v140
	s_delay_alu instid0(VALU_DEP_2) | instskip(NEXT) | instid1(VALU_DEP_2)
	v_add_f32_e32 v99, v99, v142
	v_add_f32_e32 v147, v157, v147
	v_fma_f32 v140, 0x3ed4b147, v100, -v140
	v_mul_f32_e32 v157, 0xbf27a4f4, v94
	v_mul_f32_e32 v104, 0xbf4178ce, v156
	s_delay_alu instid0(VALU_DEP_3) | instskip(SKIP_1) | instid1(VALU_DEP_3)
	v_dual_add_f32 v140, v140, v141 :: v_dual_mul_f32 v141, 0x3e903f40, v156
	v_add_f32_e32 v102, v102, v148
	v_fmamk_f32 v148, v100, 0xbf27a4f4, v104
	s_delay_alu instid0(VALU_DEP_1)
	v_add_f32_e32 v142, v148, v149
	v_fmamk_f32 v148, v93, 0x3f4178ce, v157
	v_fmac_f32_e32 v157, 0xbf4178ce, v93
	v_fma_f32 v104, 0xbf27a4f4, v100, -v104
	v_fmamk_f32 v149, v100, 0xbf75a155, v141
	v_fma_f32 v141, 0xbf75a155, v100, -v141
	v_mul_f32_e32 v158, 0xbf75a155, v94
	s_delay_alu instid0(VALU_DEP_3) | instskip(SKIP_1) | instid1(VALU_DEP_4)
	v_dual_add_f32 v104, v104, v143 :: v_dual_add_f32 v143, v149, v144
	v_mul_f32_e32 v149, 0x3f7d64f0, v156
	v_add_f32_e32 v141, v141, v145
	s_delay_alu instid0(VALU_DEP_4) | instskip(SKIP_1) | instid1(VALU_DEP_2)
	v_fmamk_f32 v144, v93, 0xbe903f40, v158
	v_mul_f32_e32 v156, 0x3f0a6770, v156
	v_dual_add_f32 v78, v157, v78 :: v_dual_add_f32 v83, v144, v83
	v_fmamk_f32 v144, v100, 0xbe11bafb, v149
	v_fma_f32 v149, 0xbe11bafb, v100, -v149
	s_delay_alu instid0(VALU_DEP_1)
	v_dual_fmac_f32 v158, 0x3e903f40, v93 :: v_dual_add_f32 v149, v149, v151
	v_sub_f32_e32 v151, v96, v98
	v_add_f32_e32 v148, v148, v150
	v_mul_f32_e32 v150, 0xbe11bafb, v94
	v_add_f32_e32 v144, v144, v153
	v_dual_fmamk_f32 v153, v100, 0x3f575c64, v156 :: v_dual_mul_f32 v94, 0x3f575c64, v94
	s_delay_alu instid0(VALU_DEP_3) | instskip(NEXT) | instid1(VALU_DEP_1)
	v_dual_add_f32 v146, v158, v146 :: v_dual_fmamk_f32 v145, v93, 0xbf7d64f0, v150
	v_dual_fmac_f32 v150, 0x3f7d64f0, v93 :: v_dual_add_f32 v145, v145, v154
	s_delay_alu instid0(VALU_DEP_1) | instskip(NEXT) | instid1(VALU_DEP_4)
	v_add_f32_e32 v150, v150, v152
	v_add_f32_e32 v152, v153, v155
	v_fmamk_f32 v153, v93, 0xbf0a6770, v94
	v_mul_f32_e32 v155, 0xbf7d64f0, v151
	v_fmac_f32_e32 v94, 0x3f0a6770, v93
	v_dual_sub_f32 v93, v95, v97 :: v_dual_add_f32 v96, v98, v96
	s_delay_alu instid0(VALU_DEP_1) | instskip(NEXT) | instid1(VALU_DEP_1)
	v_dual_add_f32 v154, v97, v95 :: v_dual_mul_f32 v97, 0xbe11bafb, v96
	v_fmamk_f32 v95, v154, 0xbe11bafb, v155
	s_delay_alu instid0(VALU_DEP_1) | instskip(SKIP_4) | instid1(VALU_DEP_3)
	v_add_f32_e32 v95, v95, v147
	v_mul_f32_e32 v147, 0xbf75a155, v96
	v_fma_f32 v98, 0x3f575c64, v100, -v156
	v_add_f32_e32 v100, v153, v103
	v_fma_f32 v103, 0xbe11bafb, v154, -v155
	v_add_f32_e32 v84, v98, v84
	v_fmamk_f32 v98, v93, 0x3f7d64f0, v97
	v_fmac_f32_e32 v97, 0xbf7d64f0, v93
	s_delay_alu instid0(VALU_DEP_4) | instskip(NEXT) | instid1(VALU_DEP_2)
	v_add_f32_e32 v103, v103, v140
	v_add_f32_e32 v97, v97, v99
	s_delay_alu instid0(VALU_DEP_4) | instskip(SKIP_2) | instid1(VALU_DEP_3)
	v_dual_fmamk_f32 v99, v93, 0xbe903f40, v147 :: v_dual_add_f32 v98, v98, v102
	v_mul_f32_e32 v153, 0x3f575c64, v96
	v_fmac_f32_e32 v147, 0x3e903f40, v93
	v_dual_add_f32 v99, v99, v148 :: v_dual_add_f32 v94, v94, v101
	v_mul_f32_e32 v101, 0x3e903f40, v151
	v_mul_f32_e32 v148, 0x3ed4b147, v96
	s_delay_alu instid0(VALU_DEP_2) | instskip(SKIP_1) | instid1(VALU_DEP_1)
	v_fmamk_f32 v102, v154, 0xbf75a155, v101
	v_fma_f32 v101, 0xbf75a155, v154, -v101
	v_dual_add_f32 v102, v102, v142 :: v_dual_add_f32 v101, v101, v104
	v_mul_f32_e32 v104, 0xbf0a6770, v151
	s_delay_alu instid0(VALU_DEP_1) | instskip(SKIP_2) | instid1(VALU_DEP_2)
	v_dual_add_f32 v78, v147, v78 :: v_dual_fmamk_f32 v147, v154, 0x3f575c64, v104
	v_mul_f32_e32 v140, 0x3f68dda4, v151
	v_fma_f32 v104, 0x3f575c64, v154, -v104
	v_fmamk_f32 v142, v154, 0x3ed4b147, v140
	s_delay_alu instid0(VALU_DEP_2) | instskip(SKIP_2) | instid1(VALU_DEP_4)
	v_dual_add_f32 v104, v104, v149 :: v_dual_sub_f32 v149, v86, v92
	v_add_f32_e32 v86, v92, v86
	v_mul_f32_e32 v96, 0xbf27a4f4, v96
	v_dual_add_f32 v142, v142, v143 :: v_dual_fmamk_f32 v143, v93, 0xbf68dda4, v148
	s_delay_alu instid0(VALU_DEP_1) | instskip(SKIP_1) | instid1(VALU_DEP_4)
	v_add_f32_e32 v83, v143, v83
	v_add_f32_e32 v143, v147, v144
	v_fmamk_f32 v147, v93, 0x3f4178ce, v96
	v_fma_f32 v140, 0x3ed4b147, v154, -v140
	v_fmamk_f32 v144, v93, 0x3f0a6770, v153
	v_fmac_f32_e32 v153, 0xbf0a6770, v93
	v_mul_f32_e32 v92, 0xbf4178ce, v149
	v_add_f32_e32 v100, v147, v100
	v_add_f32_e32 v147, v91, v85
	v_dual_fmac_f32 v148, 0x3f68dda4, v93 :: v_dual_sub_f32 v85, v85, v91
	v_dual_add_f32 v140, v140, v141 :: v_dual_mul_f32 v91, 0xbf27a4f4, v86
	v_add_f32_e32 v144, v144, v145
	s_delay_alu instid0(VALU_DEP_3) | instskip(SKIP_2) | instid1(VALU_DEP_3)
	v_dual_add_f32 v141, v148, v146 :: v_dual_mul_f32 v146, 0xbf4178ce, v151
	v_fmac_f32_e32 v96, 0xbf4178ce, v93
	v_fmamk_f32 v93, v147, 0xbf27a4f4, v92
	v_fmamk_f32 v145, v154, 0xbf27a4f4, v146
	v_fma_f32 v146, 0xbf27a4f4, v154, -v146
	s_delay_alu instid0(VALU_DEP_4) | instskip(SKIP_2) | instid1(VALU_DEP_4)
	v_add_f32_e32 v94, v96, v94
	v_mul_f32_e32 v96, 0x3f7d64f0, v149
	v_add_f32_e32 v148, v153, v150
	v_dual_add_f32 v93, v93, v95 :: v_dual_add_f32 v84, v146, v84
	v_fmamk_f32 v146, v85, 0x3f4178ce, v91
	v_fmac_f32_e32 v91, 0xbf4178ce, v85
	s_delay_alu instid0(VALU_DEP_2) | instskip(NEXT) | instid1(VALU_DEP_2)
	v_dual_add_f32 v145, v145, v152 :: v_dual_add_f32 v98, v146, v98
	v_add_f32_e32 v91, v91, v97
	v_mul_f32_e32 v97, 0xbf0a6770, v149
	v_mul_f32_e32 v146, 0xbe11bafb, v86
	s_delay_alu instid0(VALU_DEP_2) | instskip(SKIP_1) | instid1(VALU_DEP_1)
	v_fmamk_f32 v150, v147, 0x3f575c64, v97
	v_fma_f32 v97, 0x3f575c64, v147, -v97
	v_add_f32_e32 v97, v97, v140
	v_fmamk_f32 v95, v147, 0xbe11bafb, v96
	v_fma_f32 v96, 0xbe11bafb, v147, -v96
	s_delay_alu instid0(VALU_DEP_2) | instskip(SKIP_2) | instid1(VALU_DEP_4)
	v_add_f32_e32 v95, v95, v102
	v_fma_f32 v92, 0xbf27a4f4, v147, -v92
	v_fmamk_f32 v102, v85, 0xbf7d64f0, v146
	v_add_f32_e32 v96, v96, v101
	s_delay_alu instid0(VALU_DEP_2) | instskip(NEXT) | instid1(VALU_DEP_4)
	v_dual_mul_f32 v140, 0x3f68dda4, v149 :: v_dual_add_f32 v99, v102, v99
	v_dual_add_f32 v92, v92, v103 :: v_dual_mul_f32 v103, 0x3f575c64, v86
	s_delay_alu instid0(VALU_DEP_1) | instskip(SKIP_1) | instid1(VALU_DEP_2)
	v_fmamk_f32 v101, v85, 0x3f0a6770, v103
	v_fmac_f32_e32 v103, 0xbf0a6770, v85
	v_add_f32_e32 v101, v101, v83
	v_mul_f32_e32 v83, 0xbf75a155, v86
	s_delay_alu instid0(VALU_DEP_3) | instskip(SKIP_2) | instid1(VALU_DEP_4)
	v_dual_add_f32 v103, v103, v141 :: v_dual_mul_f32 v86, 0x3ed4b147, v86
	v_add_f32_e32 v102, v150, v142
	v_mul_f32_e32 v142, 0xbe903f40, v149
	v_fmamk_f32 v141, v85, 0x3e903f40, v83
	v_fmac_f32_e32 v83, 0xbe903f40, v85
	s_delay_alu instid0(VALU_DEP_2) | instskip(NEXT) | instid1(VALU_DEP_1)
	v_dual_add_f32 v141, v141, v144 :: v_dual_fmac_f32 v146, 0x3f7d64f0, v85
	v_add_f32_e32 v78, v146, v78
	v_fmamk_f32 v146, v147, 0xbf75a155, v142
	v_fma_f32 v142, 0xbf75a155, v147, -v142
	s_delay_alu instid0(VALU_DEP_2) | instskip(SKIP_1) | instid1(VALU_DEP_2)
	v_dual_add_f32 v143, v146, v143 :: v_dual_fmamk_f32 v146, v147, 0x3ed4b147, v140
	v_fma_f32 v140, 0x3ed4b147, v147, -v140
	v_dual_add_f32 v147, v89, v87 :: v_dual_add_f32 v144, v146, v145
	v_dual_sub_f32 v145, v88, v90 :: v_dual_add_f32 v146, v90, v88
	v_add_f32_e32 v104, v142, v104
	v_dual_add_f32 v142, v83, v148 :: v_dual_fmamk_f32 v83, v85, 0xbf68dda4, v86
	s_delay_alu instid0(VALU_DEP_3) | instskip(NEXT) | instid1(VALU_DEP_4)
	v_dual_sub_f32 v148, v87, v89 :: v_dual_mul_f32 v87, 0xbf75a155, v146
	v_mul_f32_e32 v88, 0xbe903f40, v145
	v_add_f32_e32 v140, v140, v84
	s_delay_alu instid0(VALU_DEP_4) | instskip(NEXT) | instid1(VALU_DEP_4)
	v_dual_add_f32 v100, v83, v100 :: v_dual_mul_f32 v89, 0x3f0a6770, v145
	v_fmamk_f32 v84, v148, 0x3e903f40, v87
	v_fmac_f32_e32 v87, 0xbe903f40, v148
	v_fmamk_f32 v83, v147, 0xbf75a155, v88
	s_delay_alu instid0(VALU_DEP_1) | instskip(SKIP_2) | instid1(VALU_DEP_2)
	v_add_f32_e32 v83, v83, v93
	v_fmac_f32_e32 v86, 0x3f68dda4, v85
	v_fma_f32 v85, 0xbf75a155, v147, -v88
	v_add_f32_e32 v149, v86, v94
	s_delay_alu instid0(VALU_DEP_2) | instskip(SKIP_1) | instid1(VALU_DEP_2)
	v_dual_add_f32 v85, v85, v92 :: v_dual_mul_f32 v92, 0xbf4178ce, v145
	v_add_f32_e32 v86, v87, v91
	v_fma_f32 v93, 0xbf27a4f4, v147, -v92
	v_fmamk_f32 v91, v147, 0xbf27a4f4, v92
	v_mul_f32_e32 v90, 0x3f575c64, v146
	s_delay_alu instid0(VALU_DEP_3) | instskip(SKIP_3) | instid1(VALU_DEP_3)
	v_dual_mul_f32 v94, 0xbf27a4f4, v146 :: v_dual_add_f32 v93, v93, v97
	v_fmamk_f32 v88, v147, 0x3f575c64, v89
	v_fma_f32 v89, 0x3f575c64, v147, -v89
	v_add_f32_e32 v91, v91, v102
	v_dual_mul_f32 v102, 0xbe11bafb, v146 :: v_dual_add_f32 v87, v88, v95
	v_fmamk_f32 v88, v148, 0xbf0a6770, v90
	v_fmac_f32_e32 v90, 0x3f0a6770, v148
	v_mul_f32_e32 v95, 0x3f68dda4, v145
	s_delay_alu instid0(VALU_DEP_3) | instskip(NEXT) | instid1(VALU_DEP_3)
	v_dual_add_f32 v89, v89, v96 :: v_dual_add_f32 v88, v88, v99
	v_add_f32_e32 v90, v90, v78
	v_fmamk_f32 v78, v148, 0x3f4178ce, v94
	s_delay_alu instid0(VALU_DEP_4) | instskip(NEXT) | instid1(VALU_DEP_2)
	v_fma_f32 v97, 0x3ed4b147, v147, -v95
	v_add_f32_e32 v92, v78, v101
	s_delay_alu instid0(VALU_DEP_2) | instskip(NEXT) | instid1(VALU_DEP_1)
	v_dual_fmamk_f32 v78, v147, 0x3ed4b147, v95 :: v_dual_add_f32 v97, v97, v104
	v_dual_add_f32 v95, v78, v143 :: v_dual_mul_f32 v78, 0xbf7d64f0, v145
	v_add_f32_e32 v84, v84, v98
	v_mul_f32_e32 v98, 0x3ed4b147, v146
	v_fmamk_f32 v101, v148, 0x3f7d64f0, v102
	v_fmac_f32_e32 v102, 0xbf7d64f0, v148
	v_fmamk_f32 v99, v147, 0xbe11bafb, v78
	v_fma_f32 v78, 0xbe11bafb, v147, -v78
	v_fmamk_f32 v96, v148, 0xbf68dda4, v98
	v_fmac_f32_e32 v98, 0x3f68dda4, v148
	v_fmac_f32_e32 v94, 0xbf4178ce, v148
	v_add_f32_e32 v99, v99, v144
	v_add_f32_e32 v100, v101, v100
	;; [unrolled: 1-line block ×7, first 2 shown]
	ds_store_2addr_b64 v139, v[72:73], v[83:84] offset1:1
	ds_store_2addr_b64 v139, v[87:88], v[91:92] offset0:2 offset1:3
	ds_store_2addr_b64 v139, v[95:96], v[99:100] offset0:4 offset1:5
	;; [unrolled: 1-line block ×4, first 2 shown]
	ds_store_b64 v139, v[85:86] offset:80
	s_and_saveexec_b32 s0, vcc_lo
	s_cbranch_execz .LBB0_13
; %bb.12:
	v_dual_add_f32 v78, v131, v80 :: v_dual_add_f32 v87, v1, v77
	v_dual_sub_f32 v89, v79, v130 :: v_dual_sub_f32 v92, v76, v0
	v_dual_sub_f32 v90, v81, v2 :: v_dual_add_f32 v93, v11, v13
	s_delay_alu instid0(VALU_DEP_3) | instskip(SKIP_1) | instid1(VALU_DEP_3)
	v_dual_mul_f32 v91, 0xbf75a155, v78 :: v_dual_add_f32 v96, v130, v79
	v_add_f32_e32 v85, v3, v82
	v_dual_sub_f32 v99, v82, v3 :: v_dual_mul_f32 v100, 0x3ed4b147, v93
	s_delay_alu instid0(VALU_DEP_3) | instskip(NEXT) | instid1(VALU_DEP_3)
	v_fmamk_f32 v72, v89, 0x3e903f40, v91
	v_dual_sub_f32 v94, v12, v10 :: v_dual_mul_f32 v95, 0x3f575c64, v85
	v_sub_f32_e32 v97, v80, v131
	s_delay_alu instid0(VALU_DEP_4) | instskip(NEXT) | instid1(VALU_DEP_3)
	v_dual_mul_f32 v103, 0x3f0a6770, v99 :: v_dual_sub_f32 v104, v77, v1
	v_dual_add_f32 v72, v75, v72 :: v_dual_fmamk_f32 v73, v90, 0xbf0a6770, v95
	s_delay_alu instid0(VALU_DEP_3) | instskip(SKIP_1) | instid1(VALU_DEP_2)
	v_dual_mul_f32 v101, 0xbe903f40, v97 :: v_dual_sub_f32 v144, v14, v8
	v_dual_fmamk_f32 v84, v94, 0xbf68dda4, v100 :: v_dual_add_f32 v139, v9, v15
	v_dual_add_f32 v72, v73, v72 :: v_dual_fmamk_f32 v73, v96, 0xbf75a155, v101
	v_mul_f32_e32 v98, 0xbf27a4f4, v87
	v_dual_add_f32 v102, v2, v81 :: v_dual_mul_f32 v141, 0xbf4178ce, v104
	v_sub_f32_e32 v148, v15, v9
	s_delay_alu instid0(VALU_DEP_4) | instskip(NEXT) | instid1(VALU_DEP_4)
	v_add_f32_e32 v73, v74, v73
	v_fmamk_f32 v83, v92, 0x3f4178ce, v98
	v_add_f32_e32 v140, v0, v76
	v_mul_f32_e32 v152, 0xbf4178ce, v97
	v_dual_mul_f32 v151, 0xbf7d64f0, v148 :: v_dual_mul_f32 v162, 0xbf7d64f0, v97
	s_delay_alu instid0(VALU_DEP_4) | instskip(SKIP_3) | instid1(VALU_DEP_4)
	v_dual_add_f32 v72, v83, v72 :: v_dual_fmamk_f32 v83, v102, 0x3f575c64, v103
	v_sub_f32_e32 v143, v13, v11
	v_mul_f32_e32 v142, 0xbe11bafb, v139
	v_fmamk_f32 v88, v96, 0xbf27a4f4, v152
	v_dual_add_f32 v72, v84, v72 :: v_dual_add_f32 v73, v83, v73
	v_fmamk_f32 v83, v140, 0xbf27a4f4, v141
	v_dual_add_f32 v145, v10, v12 :: v_dual_mul_f32 v146, 0x3f68dda4, v143
	s_delay_alu instid0(VALU_DEP_4) | instskip(NEXT) | instid1(VALU_DEP_3)
	v_add_f32_e32 v88, v74, v88
	v_dual_fmamk_f32 v84, v144, 0x3f7d64f0, v142 :: v_dual_add_f32 v83, v83, v73
	v_add_f32_e32 v150, v8, v14
	s_delay_alu instid0(VALU_DEP_4) | instskip(SKIP_1) | instid1(VALU_DEP_4)
	v_fmamk_f32 v86, v145, 0x3ed4b147, v146
	v_mul_f32_e32 v147, 0xbf27a4f4, v78
	v_add_f32_e32 v73, v84, v72
	v_dual_mul_f32 v149, 0xbe11bafb, v85 :: v_dual_mul_f32 v160, 0xbe11bafb, v78
	s_delay_alu instid0(VALU_DEP_4) | instskip(NEXT) | instid1(VALU_DEP_4)
	v_dual_fmamk_f32 v165, v96, 0xbe11bafb, v162 :: v_dual_add_f32 v72, v86, v83
	v_fmamk_f32 v83, v89, 0x3f4178ce, v147
	v_fmamk_f32 v86, v150, 0xbe11bafb, v151
	s_delay_alu instid0(VALU_DEP_4)
	v_fmamk_f32 v84, v90, 0xbf7d64f0, v149
	v_mul_f32_e32 v154, 0x3f7d64f0, v99
	v_mul_f32_e32 v157, 0xbf0a6770, v104
	v_add_f32_e32 v83, v75, v83
	v_mul_f32_e32 v167, 0x3f575c64, v93
	v_dual_mul_f32 v159, 0xbe903f40, v143 :: v_dual_add_f32 v72, v86, v72
	v_fmamk_f32 v156, v102, 0xbe11bafb, v154
	v_mul_f32_e32 v153, 0x3f575c64, v87
	v_add_f32_e32 v83, v84, v83
	v_add_f32_e32 v165, v74, v165
	v_mul_f32_e32 v169, 0x3f68dda4, v104
	v_add_f32_e32 v88, v156, v88
	v_fmamk_f32 v84, v92, 0x3f0a6770, v153
	v_fmamk_f32 v156, v140, 0x3f575c64, v157
	v_mul_f32_e32 v155, 0xbf75a155, v93
	v_mul_f32_e32 v177, 0xbf4178ce, v99
	;; [unrolled: 1-line block ×3, first 2 shown]
	v_add_f32_e32 v80, v80, v75
	v_add_f32_e32 v88, v156, v88
	v_dual_add_f32 v83, v84, v83 :: v_dual_fmamk_f32 v84, v94, 0x3e903f40, v155
	v_dual_fmamk_f32 v156, v145, 0xbf75a155, v159 :: v_dual_mul_f32 v161, 0xbf75a155, v85
	v_fmamk_f32 v179, v102, 0xbf27a4f4, v177
	v_fmamk_f32 v173, v144, 0x3f4178ce, v170
	s_delay_alu instid0(VALU_DEP_4) | instskip(NEXT) | instid1(VALU_DEP_4)
	v_add_f32_e32 v83, v84, v83
	v_add_f32_e32 v86, v156, v88
	v_mul_f32_e32 v166, 0x3e903f40, v99
	v_dual_mul_f32 v185, 0x3ed4b147, v85 :: v_dual_add_f32 v80, v82, v80
	v_fmac_f32_e32 v142, 0xbf7d64f0, v144
	v_mul_f32_e32 v82, 0xbf68dda4, v99
	s_delay_alu instid0(VALU_DEP_4)
	v_fmamk_f32 v168, v102, 0xbf75a155, v166
	v_mul_f32_e32 v158, 0x3ed4b147, v139
	v_fmac_f32_e32 v170, 0xbf4178ce, v144
	v_fmac_f32_e32 v100, 0x3f68dda4, v94
	v_mul_f32_e32 v183, 0x3f0a6770, v148
	v_add_f32_e32 v165, v168, v165
	v_fmamk_f32 v84, v144, 0xbf68dda4, v158
	v_fmamk_f32 v168, v140, 0x3ed4b147, v169
	;; [unrolled: 1-line block ×3, first 2 shown]
	v_dual_fmac_f32 v158, 0x3f68dda4, v144 :: v_dual_add_f32 v79, v79, v74
	s_delay_alu instid0(VALU_DEP_4) | instskip(NEXT) | instid1(VALU_DEP_4)
	v_add_f32_e32 v84, v84, v83
	v_add_f32_e32 v165, v168, v165
	v_fmamk_f32 v83, v89, 0x3f7d64f0, v160
	v_fmac_f32_e32 v160, 0xbf7d64f0, v89
	v_mul_f32_e32 v175, 0xbf4178ce, v148
	v_dual_mul_f32 v174, 0xbf27a4f4, v85 :: v_dual_add_f32 v77, v77, v80
	s_delay_alu instid0(VALU_DEP_4) | instskip(SKIP_1) | instid1(VALU_DEP_4)
	v_dual_add_f32 v83, v75, v83 :: v_dual_mul_f32 v156, 0x3f68dda4, v148
	v_mul_f32_e32 v180, 0x3e903f40, v104
	v_fmamk_f32 v181, v150, 0xbf27a4f4, v175
	s_delay_alu instid0(VALU_DEP_4) | instskip(NEXT) | instid1(VALU_DEP_4)
	v_add_f32_e32 v13, v13, v77
	v_add_f32_e32 v83, v88, v83
	v_dual_mul_f32 v163, 0x3ed4b147, v87 :: v_dual_fmamk_f32 v164, v150, 0x3ed4b147, v156
	s_delay_alu instid0(VALU_DEP_3) | instskip(SKIP_1) | instid1(VALU_DEP_3)
	v_dual_mul_f32 v182, 0x3f7d64f0, v143 :: v_dual_add_f32 v13, v15, v13
	v_mul_f32_e32 v178, 0xbe11bafb, v93
	v_fmamk_f32 v88, v92, 0xbf68dda4, v163
	v_mul_f32_e32 v93, 0xbf27a4f4, v93
	v_fmamk_f32 v187, v90, 0x3f68dda4, v185
	v_dual_add_f32 v79, v81, v79 :: v_dual_fmamk_f32 v80, v102, 0x3ed4b147, v82
	s_delay_alu instid0(VALU_DEP_4) | instskip(NEXT) | instid1(VALU_DEP_2)
	v_dual_add_f32 v83, v88, v83 :: v_dual_fmamk_f32 v88, v94, 0x3f0a6770, v167
	v_dual_fmac_f32 v91, 0xbe903f40, v89 :: v_dual_add_f32 v76, v76, v79
	v_mul_f32_e32 v15, 0xbf4178ce, v143
	s_delay_alu instid0(VALU_DEP_3) | instskip(SKIP_3) | instid1(VALU_DEP_4)
	v_dual_fmac_f32 v147, 0xbf4178ce, v89 :: v_dual_add_f32 v88, v88, v83
	v_mul_f32_e32 v171, 0xbf0a6770, v143
	v_add_f32_e32 v83, v164, v86
	v_dual_add_f32 v9, v9, v13 :: v_dual_mul_f32 v188, 0xbe11bafb, v87
	v_add_f32_e32 v86, v173, v88
	s_delay_alu instid0(VALU_DEP_4) | instskip(SKIP_3) | instid1(VALU_DEP_4)
	v_fmamk_f32 v168, v145, 0x3f575c64, v171
	v_mul_f32_e32 v173, 0xbf75a155, v87
	v_fma_f32 v13, 0xbe11bafb, v102, -v154
	v_fmac_f32_e32 v149, 0x3f7d64f0, v90
	v_dual_fmac_f32 v95, 0x3f0a6770, v90 :: v_dual_add_f32 v88, v168, v165
	v_mul_f32_e32 v165, 0xbf68dda4, v97
	v_mul_f32_e32 v172, 0x3ed4b147, v78
	;; [unrolled: 1-line block ×3, first 2 shown]
	s_delay_alu instid0(VALU_DEP_4) | instskip(NEXT) | instid1(VALU_DEP_4)
	v_dual_fmamk_f32 v168, v90, 0x3f4178ce, v174 :: v_dual_add_f32 v85, v181, v88
	v_fmamk_f32 v176, v96, 0x3ed4b147, v165
	s_delay_alu instid0(VALU_DEP_4) | instskip(NEXT) | instid1(VALU_DEP_4)
	v_fmamk_f32 v164, v89, 0x3f68dda4, v172
	v_dual_mul_f32 v78, 0x3f575c64, v78 :: v_dual_fmamk_f32 v81, v96, 0x3f575c64, v97
	v_fmac_f32_e32 v172, 0xbf68dda4, v89
	s_delay_alu instid0(VALU_DEP_4) | instskip(NEXT) | instid1(VALU_DEP_4)
	v_add_f32_e32 v176, v74, v176
	v_add_f32_e32 v164, v75, v164
	;; [unrolled: 1-line block ×4, first 2 shown]
	v_mul_f32_e32 v81, 0xbf7d64f0, v104
	v_dual_add_f32 v176, v179, v176 :: v_dual_fmamk_f32 v179, v140, 0xbf75a155, v180
	v_add_f32_e32 v164, v168, v164
	v_fmamk_f32 v168, v92, 0xbe903f40, v173
	v_dual_fmamk_f32 v184, v89, 0x3f0a6770, v78 :: v_dual_add_f32 v77, v80, v79
	s_delay_alu instid0(VALU_DEP_4) | instskip(NEXT) | instid1(VALU_DEP_3)
	v_dual_add_f32 v176, v179, v176 :: v_dual_fmamk_f32 v179, v145, 0xbe11bafb, v182
	v_add_f32_e32 v164, v168, v164
	v_fmamk_f32 v168, v94, 0xbf7d64f0, v178
	s_delay_alu instid0(VALU_DEP_4) | instskip(NEXT) | instid1(VALU_DEP_4)
	v_dual_fmamk_f32 v79, v140, 0xbe11bafb, v81 :: v_dual_add_f32 v184, v75, v184
	v_dual_add_f32 v176, v179, v176 :: v_dual_fmamk_f32 v179, v150, 0x3f575c64, v183
	s_delay_alu instid0(VALU_DEP_3) | instskip(NEXT) | instid1(VALU_DEP_3)
	v_add_f32_e32 v164, v168, v164
	v_dual_mul_f32 v168, 0x3f575c64, v139 :: v_dual_add_f32 v77, v79, v77
	v_mul_f32_e32 v79, 0xbe903f40, v148
	v_dual_add_f32 v12, v12, v76 :: v_dual_fmac_f32 v155, 0xbe903f40, v94
	s_delay_alu instid0(VALU_DEP_3) | instskip(SKIP_2) | instid1(VALU_DEP_4)
	v_fmamk_f32 v186, v144, 0xbf0a6770, v168
	v_add_f32_e32 v80, v75, v172
	v_fmac_f32_e32 v153, 0xbf0a6770, v92
	v_dual_add_f32 v12, v14, v12 :: v_dual_fmac_f32 v161, 0x3e903f40, v90
	s_delay_alu instid0(VALU_DEP_4) | instskip(SKIP_2) | instid1(VALU_DEP_4)
	v_add_f32_e32 v88, v186, v164
	v_fmac_f32_e32 v174, 0xbf4178ce, v90
	v_fmac_f32_e32 v163, 0x3f68dda4, v92
	v_add_f32_e32 v8, v8, v12
	v_fmamk_f32 v12, v145, 0xbf27a4f4, v15
	v_add_f32_e32 v164, v187, v184
	v_add_f32_e32 v80, v174, v80
	v_fmac_f32_e32 v178, 0x3f7d64f0, v94
	v_add_f32_e32 v8, v10, v8
	v_dual_add_f32 v10, v75, v91 :: v_dual_add_f32 v11, v12, v77
	v_fmamk_f32 v12, v150, 0xbf75a155, v79
	v_fmac_f32_e32 v173, 0x3e903f40, v92
	s_delay_alu instid0(VALU_DEP_4) | instskip(NEXT) | instid1(VALU_DEP_4)
	v_dual_add_f32 v8, v0, v8 :: v_dual_fmac_f32 v167, 0xbf0a6770, v94
	v_add_f32_e32 v10, v95, v10
	s_delay_alu instid0(VALU_DEP_4) | instskip(NEXT) | instid1(VALU_DEP_4)
	v_add_f32_e32 v0, v12, v11
	v_add_f32_e32 v80, v173, v80
	;; [unrolled: 1-line block ×3, first 2 shown]
	v_dual_add_f32 v87, v179, v176 :: v_dual_fmamk_f32 v176, v92, 0x3f7d64f0, v188
	v_add_f32_e32 v9, v1, v9
	s_delay_alu instid0(VALU_DEP_3)
	v_dual_fmac_f32 v185, 0xbf68dda4, v90 :: v_dual_add_f32 v12, v149, v12
	v_fmac_f32_e32 v98, 0xbf4178ce, v92
	v_fmac_f32_e32 v78, 0xbf0a6770, v89
	v_add_f32_e32 v2, v2, v8
	v_fma_f32 v11, 0x3f575c64, v102, -v103
	v_add_f32_e32 v12, v153, v12
	v_add_f32_e32 v8, v98, v10
	v_fmac_f32_e32 v168, 0x3f0a6770, v144
	v_fma_f32 v77, 0x3ed4b147, v150, -v156
	v_fma_f32 v91, 0xbf27a4f4, v150, -v175
	v_add_f32_e32 v12, v155, v12
	v_mul_f32_e32 v76, 0xbf75a155, v139
	v_add_f32_e32 v8, v100, v8
	v_fma_f32 v89, 0xbf27a4f4, v102, -v177
	v_add_f32_e32 v3, v3, v9
	v_fma_f32 v9, 0xbf75a155, v96, -v101
	v_fmamk_f32 v14, v144, 0x3e903f40, v76
	v_add_f32_e32 v164, v176, v164
	v_fmamk_f32 v176, v94, 0x3f4178ce, v93
	s_delay_alu instid0(VALU_DEP_4) | instskip(SKIP_2) | instid1(VALU_DEP_4)
	v_dual_fmac_f32 v93, 0xbf4178ce, v94 :: v_dual_add_f32 v10, v74, v9
	v_add_f32_e32 v9, v142, v8
	v_fma_f32 v8, 0xbf27a4f4, v96, -v152
	v_add_f32_e32 v99, v176, v164
	v_fmac_f32_e32 v188, 0xbf7d64f0, v92
	v_add_f32_e32 v10, v11, v10
	v_fma_f32 v11, 0xbf27a4f4, v140, -v141
	v_add_f32_e32 v8, v74, v8
	v_add_f32_e32 v1, v14, v99
	v_fma_f32 v14, 0xbf75a155, v145, -v159
	v_fma_f32 v15, 0xbf27a4f4, v145, -v15
	v_add_f32_e32 v10, v11, v10
	v_fma_f32 v11, 0x3ed4b147, v145, -v146
	v_add_f32_e32 v8, v13, v8
	;; [unrolled: 2-line block ×4, first 2 shown]
	v_fma_f32 v11, 0xbe11bafb, v150, -v151
	s_delay_alu instid0(VALU_DEP_1) | instskip(SKIP_2) | instid1(VALU_DEP_3)
	v_dual_add_f32 v13, v13, v8 :: v_dual_add_f32 v8, v11, v10
	v_fma_f32 v10, 0xbe11bafb, v96, -v162
	v_add_f32_e32 v11, v158, v12
	v_add_f32_e32 v12, v14, v13
	v_fma_f32 v14, 0xbf75a155, v102, -v166
	s_delay_alu instid0(VALU_DEP_4) | instskip(SKIP_2) | instid1(VALU_DEP_3)
	v_dual_add_f32 v13, v75, v160 :: v_dual_add_f32 v10, v74, v10
	v_add_f32_e32 v75, v75, v78
	v_fma_f32 v78, 0x3ed4b147, v102, -v82
	v_dual_fmac_f32 v76, 0xbe903f40, v144 :: v_dual_add_f32 v13, v161, v13
	s_delay_alu instid0(VALU_DEP_4) | instskip(SKIP_2) | instid1(VALU_DEP_2)
	v_add_f32_e32 v10, v14, v10
	v_fma_f32 v14, 0x3ed4b147, v140, -v169
	v_dual_add_f32 v75, v185, v75 :: v_dual_add_f32 v2, v130, v2
	v_dual_add_f32 v13, v163, v13 :: v_dual_add_f32 v10, v14, v10
	s_delay_alu instid0(VALU_DEP_2) | instskip(SKIP_1) | instid1(VALU_DEP_3)
	v_add_f32_e32 v75, v188, v75
	v_fma_f32 v14, 0x3f575c64, v145, -v171
	v_add_f32_e32 v13, v167, v13
	s_delay_alu instid0(VALU_DEP_2) | instskip(SKIP_3) | instid1(VALU_DEP_4)
	v_dual_add_f32 v75, v93, v75 :: v_dual_add_f32 v14, v14, v10
	v_add_f32_e32 v10, v77, v12
	v_add_f32_e32 v77, v178, v80
	v_fma_f32 v80, 0x3f575c64, v96, -v97
	v_dual_add_f32 v13, v170, v13 :: v_dual_add_f32 v12, v91, v14
	v_fma_f32 v14, 0x3ed4b147, v96, -v165
	s_delay_alu instid0(VALU_DEP_1) | instskip(NEXT) | instid1(VALU_DEP_4)
	v_dual_add_f32 v75, v76, v75 :: v_dual_add_f32 v14, v74, v14
	v_add_f32_e32 v74, v74, v80
	v_fma_f32 v80, 0xbf75a155, v140, -v180
	s_delay_alu instid0(VALU_DEP_3) | instskip(NEXT) | instid1(VALU_DEP_3)
	v_add_f32_e32 v14, v89, v14
	v_add_f32_e32 v74, v78, v74
	v_fma_f32 v78, 0xbe11bafb, v140, -v81
	s_delay_alu instid0(VALU_DEP_3) | instskip(SKIP_1) | instid1(VALU_DEP_3)
	v_add_f32_e32 v14, v80, v14
	v_fma_f32 v80, 0xbe11bafb, v145, -v182
	v_add_f32_e32 v74, v78, v74
	v_fma_f32 v78, 0x3f575c64, v150, -v183
	s_delay_alu instid0(VALU_DEP_3) | instskip(NEXT) | instid1(VALU_DEP_3)
	v_add_f32_e32 v14, v80, v14
	v_add_f32_e32 v74, v15, v74
	v_dual_add_f32 v15, v168, v77 :: v_dual_lshlrev_b32 v80, 3, v134
	s_delay_alu instid0(VALU_DEP_3) | instskip(NEXT) | instid1(VALU_DEP_3)
	v_add_f32_e32 v14, v78, v14
	v_add_f32_e32 v74, v79, v74
	ds_store_2addr_b64 v80, v[2:3], v[0:1] offset1:1
	ds_store_2addr_b64 v80, v[87:88], v[85:86] offset0:2 offset1:3
	ds_store_2addr_b64 v80, v[83:84], v[72:73] offset0:4 offset1:5
	;; [unrolled: 1-line block ×4, first 2 shown]
	ds_store_b64 v80, v[74:75] offset:80
.LBB0_13:
	s_wait_alu 0xfffe
	s_or_b32 exec_lo, exec_lo, s0
	global_wb scope:SCOPE_SE
	s_wait_dscnt 0x0
	s_barrier_signal -1
	s_barrier_wait -1
	global_inv scope:SCOPE_SE
	ds_load_2addr_b64 v[9:12], v132 offset0:110 offset1:165
	v_add_nc_u32_e32 v2, 0x1000, v132
	s_mov_b32 s2, 0x3dc013dc
	s_mov_b32 s3, 0x3f53dc01
	s_wait_dscnt 0x0
	v_mul_f32_e32 v13, v33, v11
	v_mul_f32_e32 v14, v33, v12
	s_delay_alu instid0(VALU_DEP_1)
	v_dual_fmac_f32 v14, v32, v11 :: v_dual_add_nc_u32 v3, 0x800, v132
	ds_load_2addr_b64 v[72:75], v3 offset0:74 offset1:129
	v_add_nc_u32_e32 v8, 0x400, v132
	v_fma_f32 v32, v32, v12, -v13
	s_wait_dscnt 0x0
	v_mul_f32_e32 v33, v35, v73
	ds_load_2addr_b64 v[76:79], v3 offset0:184 offset1:239
	ds_load_2addr_b64 v[80:83], v2 offset0:148 offset1:203
	;; [unrolled: 1-line block ×3, first 2 shown]
	ds_load_2addr_b64 v[88:91], v132 offset1:55
	ds_load_b64 v[0:1], v132 offset:6160
	ds_load_2addr_b64 v[92:95], v2 offset0:38 offset1:93
	v_mul_f32_e32 v11, v35, v72
	global_wb scope:SCOPE_SE
	s_wait_dscnt 0x0
	v_fmac_f32_e32 v33, v34, v72
	s_barrier_signal -1
	s_barrier_wait -1
	global_inv scope:SCOPE_SE
	v_mul_f32_e32 v35, v29, v79
	v_dual_mul_f32 v12, v29, v78 :: v_dual_mul_f32 v29, v31, v81
	v_dual_mul_f32 v15, v25, v84 :: v_dual_mul_f32 v72, v19, v83
	v_mul_f32_e32 v13, v31, v80
	v_mul_f32_e32 v31, v25, v85
	v_fma_f32 v25, v34, v73, -v11
	s_delay_alu instid0(VALU_DEP_4) | instskip(SKIP_1) | instid1(VALU_DEP_4)
	v_fma_f32 v34, v24, v85, -v15
	v_dual_fmac_f32 v29, v30, v80 :: v_dual_mul_f32 v80, v7, v1
	v_dual_fmac_f32 v31, v24, v84 :: v_dual_mul_f32 v24, v27, v75
	v_mul_f32_e32 v11, v27, v74
	v_fmac_f32_e32 v72, v18, v82
	s_delay_alu instid0(VALU_DEP_4)
	v_fmac_f32_e32 v80, v6, v0
	v_fma_f32 v30, v30, v81, -v13
	v_fmac_f32_e32 v24, v26, v74
	v_fmac_f32_e32 v35, v28, v78
	v_fma_f32 v28, v28, v79, -v12
	v_mul_f32_e32 v12, v17, v92
	v_fma_f32 v26, v26, v75, -v11
	v_mul_f32_e32 v75, v23, v77
	v_dual_mul_f32 v13, v23, v76 :: v_dual_mul_f32 v74, v21, v87
	s_delay_alu instid0(VALU_DEP_4) | instskip(SKIP_2) | instid1(VALU_DEP_4)
	v_fma_f32 v73, v16, v93, -v12
	v_mul_f32_e32 v12, v21, v86
	v_mul_f32_e32 v11, v19, v82
	v_dual_mul_f32 v27, v17, v93 :: v_dual_fmac_f32 v74, v20, v86
	v_fmac_f32_e32 v75, v22, v76
	s_delay_alu instid0(VALU_DEP_4) | instskip(NEXT) | instid1(VALU_DEP_4)
	v_fma_f32 v79, v20, v87, -v12
	v_fma_f32 v78, v18, v83, -v11
	;; [unrolled: 1-line block ×3, first 2 shown]
	v_mul_f32_e32 v77, v5, v95
	v_mul_f32_e32 v12, v5, v94
	v_dual_add_f32 v13, v88, v14 :: v_dual_add_f32 v18, v14, v29
	v_fmac_f32_e32 v27, v16, v92
	v_sub_f32_e32 v16, v32, v30
	v_fmac_f32_e32 v77, v4, v94
	v_fma_f32 v4, v4, v95, -v12
	v_add_f32_e32 v12, v13, v33
	v_sub_f32_e32 v17, v25, v28
	v_sub_f32_e32 v13, v14, v33
	v_sub_f32_e32 v15, v29, v35
	v_mul_f32_e32 v7, v7, v0
	v_fma_f32 v0, -0.5, v18, v88
	v_add_f32_e32 v11, v33, v35
	v_add_f32_e32 v12, v12, v35
	v_dual_add_f32 v19, v13, v15 :: v_dual_sub_f32 v20, v30, v28
	s_delay_alu instid0(VALU_DEP_4)
	v_fmamk_f32 v15, v17, 0x3f737871, v0
	v_fmac_f32_e32 v0, 0xbf737871, v17
	v_fma_f32 v5, -0.5, v11, v88
	v_fma_f32 v7, v6, v1, -v7
	v_add_f32_e32 v13, v12, v29
	v_dual_sub_f32 v1, v33, v14 :: v_dual_sub_f32 v6, v35, v29
	s_delay_alu instid0(VALU_DEP_4) | instskip(SKIP_2) | instid1(VALU_DEP_4)
	v_dual_fmamk_f32 v11, v16, 0xbf737871, v5 :: v_dual_add_f32 v18, v25, v28
	v_dual_fmac_f32 v5, 0x3f737871, v16 :: v_dual_add_f32 v22, v24, v27
	v_add_f32_e32 v12, v89, v32
	v_add_f32_e32 v1, v1, v6
	s_delay_alu instid0(VALU_DEP_4)
	v_fma_f32 v6, -0.5, v18, v89
	v_sub_f32_e32 v18, v14, v29
	v_fmac_f32_e32 v11, 0xbf167918, v17
	v_fmac_f32_e32 v5, 0x3f167918, v17
	v_add_f32_e32 v12, v12, v25
	v_sub_f32_e32 v17, v32, v25
	v_dual_sub_f32 v21, v28, v30 :: v_dual_fmac_f32 v0, 0x3f167918, v16
	s_delay_alu instid0(VALU_DEP_3)
	v_dual_add_f32 v23, v90, v31 :: v_dual_add_f32 v14, v12, v28
	v_fmamk_f32 v12, v18, 0x3f737871, v6
	v_fmac_f32_e32 v6, 0xbf737871, v18
	v_add_f32_e32 v20, v17, v20
	v_sub_f32_e32 v17, v25, v32
	v_fmac_f32_e32 v5, 0x3e9e377a, v19
	v_sub_f32_e32 v25, v26, v73
	v_dual_add_f32 v29, v31, v72 :: v_dual_add_f32 v14, v14, v30
	s_delay_alu instid0(VALU_DEP_4)
	v_dual_add_f32 v21, v17, v21 :: v_dual_sub_f32 v28, v72, v27
	v_fma_f32 v17, -0.5, v22, v90
	v_dual_sub_f32 v22, v34, v78 :: v_dual_fmac_f32 v15, 0xbf167918, v16
	v_dual_add_f32 v16, v32, v30 :: v_dual_fmac_f32 v11, 0x3e9e377a, v19
	v_sub_f32_e32 v19, v33, v35
	v_fma_f32 v90, -0.5, v29, v90
	v_add_f32_e32 v30, v26, v73
	v_add_f32_e32 v33, v74, v80
	v_sub_f32_e32 v32, v76, v4
	v_fmac_f32_e32 v12, 0x3f167918, v19
	v_fmac_f32_e32 v6, 0xbf167918, v19
	s_delay_alu instid0(VALU_DEP_2) | instskip(SKIP_2) | instid1(VALU_DEP_4)
	v_dual_fmac_f32 v12, 0x3e9e377a, v20 :: v_dual_fmac_f32 v15, 0x3e9e377a, v1
	v_fmac_f32_e32 v0, 0x3e9e377a, v1
	v_fma_f32 v1, -0.5, v16, v89
	v_fmac_f32_e32 v6, 0x3e9e377a, v20
	v_add_f32_e32 v20, v23, v24
	v_sub_f32_e32 v23, v31, v24
	s_delay_alu instid0(VALU_DEP_4) | instskip(NEXT) | instid1(VALU_DEP_1)
	v_fmamk_f32 v16, v19, 0xbf737871, v1
	v_fmac_f32_e32 v16, 0x3f167918, v18
	v_fmac_f32_e32 v1, 0x3f737871, v19
	v_fmamk_f32 v19, v22, 0xbf737871, v17
	v_fmac_f32_e32 v17, 0x3f737871, v22
	s_delay_alu instid0(VALU_DEP_4) | instskip(NEXT) | instid1(VALU_DEP_4)
	v_fmac_f32_e32 v16, 0x3e9e377a, v21
	v_dual_fmac_f32 v1, 0xbf167918, v18 :: v_dual_add_f32 v18, v20, v27
	s_delay_alu instid0(VALU_DEP_4) | instskip(NEXT) | instid1(VALU_DEP_2)
	v_fmac_f32_e32 v19, 0xbf167918, v25
	v_fmac_f32_e32 v1, 0x3e9e377a, v21
	s_delay_alu instid0(VALU_DEP_3) | instskip(SKIP_4) | instid1(VALU_DEP_3)
	v_dual_add_f32 v21, v18, v72 :: v_dual_sub_f32 v18, v24, v31
	v_dual_add_f32 v20, v23, v28 :: v_dual_fmamk_f32 v23, v25, 0x3f737871, v90
	v_sub_f32_e32 v28, v27, v72
	v_dual_fmac_f32 v90, 0xbf737871, v25 :: v_dual_sub_f32 v27, v24, v27
	v_fmac_f32_e32 v17, 0x3f167918, v25
	v_dual_fmac_f32 v23, 0xbf167918, v22 :: v_dual_add_f32 v28, v18, v28
	v_fma_f32 v18, -0.5, v30, v91
	s_delay_alu instid0(VALU_DEP_4) | instskip(SKIP_3) | instid1(VALU_DEP_4)
	v_fmac_f32_e32 v90, 0x3f167918, v22
	v_dual_sub_f32 v24, v34, v26 :: v_dual_fmac_f32 v19, 0x3e9e377a, v20
	v_dual_sub_f32 v30, v78, v73 :: v_dual_fmac_f32 v17, 0x3e9e377a, v20
	v_fmac_f32_e32 v23, 0x3e9e377a, v28
	v_fmac_f32_e32 v90, 0x3e9e377a, v28
	s_delay_alu instid0(VALU_DEP_3) | instskip(SKIP_2) | instid1(VALU_DEP_1)
	v_add_f32_e32 v28, v24, v30
	v_add_f32_e32 v30, v75, v77
	;; [unrolled: 1-line block ×4, first 2 shown]
	v_sub_f32_e32 v29, v31, v72
	v_dual_sub_f32 v31, v80, v77 :: v_dual_sub_f32 v72, v7, v4
	s_delay_alu instid0(VALU_DEP_2) | instskip(SKIP_2) | instid1(VALU_DEP_1)
	v_fmamk_f32 v20, v29, 0x3f737871, v18
	v_fmac_f32_e32 v18, 0xbf737871, v29
	v_dual_add_f32 v22, v25, v73 :: v_dual_add_f32 v25, v34, v78
	v_dual_add_f32 v22, v22, v78 :: v_dual_fmac_f32 v91, -0.5, v25
	v_sub_f32_e32 v25, v26, v34
	v_sub_f32_e32 v26, v73, v78
	v_dual_sub_f32 v34, v74, v80 :: v_dual_sub_f32 v35, v75, v77
	s_delay_alu instid0(VALU_DEP_2) | instskip(SKIP_3) | instid1(VALU_DEP_3)
	v_dual_sub_f32 v73, v76, v79 :: v_dual_add_f32 v26, v25, v26
	v_fmamk_f32 v24, v27, 0xbf737871, v91
	v_fma_f32 v25, -0.5, v30, v9
	v_sub_f32_e32 v30, v79, v7
	v_fmac_f32_e32 v24, 0x3f167918, v29
	v_fmac_f32_e32 v20, 0x3f167918, v27
	;; [unrolled: 1-line block ×4, first 2 shown]
	v_add_f32_e32 v27, v9, v74
	v_fmac_f32_e32 v24, 0x3e9e377a, v26
	v_fmac_f32_e32 v20, 0x3e9e377a, v28
	;; [unrolled: 1-line block ×3, first 2 shown]
	s_delay_alu instid0(VALU_DEP_4) | instskip(SKIP_3) | instid1(VALU_DEP_4)
	v_dual_fmac_f32 v91, 0xbf167918, v29 :: v_dual_add_f32 v28, v27, v75
	v_fmamk_f32 v27, v30, 0xbf737871, v25
	v_sub_f32_e32 v29, v74, v75
	v_fmac_f32_e32 v25, 0x3f737871, v30
	v_dual_fmac_f32 v91, 0x3e9e377a, v26 :: v_dual_add_f32 v28, v28, v77
	v_add_f32_e32 v26, v76, v4
	v_fmac_f32_e32 v27, 0xbf167918, v32
	v_add_f32_e32 v31, v29, v31
	v_fmac_f32_e32 v25, 0x3f167918, v32
	s_delay_alu instid0(VALU_DEP_4)
	v_fma_f32 v26, -0.5, v26, v10
	v_dual_add_f32 v29, v28, v80 :: v_dual_sub_f32 v28, v75, v74
	v_fma_f32 v9, -0.5, v33, v9
	v_fmac_f32_e32 v27, 0x3e9e377a, v31
	v_fmac_f32_e32 v25, 0x3e9e377a, v31
	v_sub_f32_e32 v33, v77, v80
	s_delay_alu instid0(VALU_DEP_4) | instskip(SKIP_1) | instid1(VALU_DEP_3)
	v_fmamk_f32 v31, v32, 0x3f737871, v9
	v_dual_fmac_f32 v9, 0xbf737871, v32 :: v_dual_add_f32 v32, v10, v79
	v_dual_add_f32 v33, v28, v33 :: v_dual_fmamk_f32 v28, v34, 0x3f737871, v26
	s_delay_alu instid0(VALU_DEP_3) | instskip(SKIP_1) | instid1(VALU_DEP_4)
	v_fmac_f32_e32 v31, 0xbf167918, v30
	v_fmac_f32_e32 v26, 0xbf737871, v34
	v_dual_fmac_f32 v9, 0x3f167918, v30 :: v_dual_add_f32 v30, v32, v76
	v_add_f32_e32 v32, v79, v7
	s_delay_alu instid0(VALU_DEP_2) | instskip(NEXT) | instid1(VALU_DEP_2)
	v_add_f32_e32 v30, v30, v4
	v_fmac_f32_e32 v10, -0.5, v32
	v_sub_f32_e32 v4, v4, v7
	s_delay_alu instid0(VALU_DEP_3) | instskip(NEXT) | instid1(VALU_DEP_3)
	v_add_f32_e32 v30, v30, v7
	v_fmamk_f32 v32, v35, 0xbf737871, v10
	s_delay_alu instid0(VALU_DEP_3) | instskip(NEXT) | instid1(VALU_DEP_2)
	v_dual_add_f32 v4, v73, v4 :: v_dual_fmac_f32 v31, 0x3e9e377a, v33
	v_fmac_f32_e32 v32, 0x3f167918, v34
	v_fmac_f32_e32 v9, 0x3e9e377a, v33
	v_dual_sub_f32 v33, v79, v76 :: v_dual_fmac_f32 v10, 0x3f737871, v35
	v_fmac_f32_e32 v28, 0x3f167918, v35
	v_fmac_f32_e32 v26, 0xbf167918, v35
	;; [unrolled: 1-line block ×3, first 2 shown]
	s_delay_alu instid0(VALU_DEP_4) | instskip(NEXT) | instid1(VALU_DEP_1)
	v_dual_add_f32 v33, v33, v72 :: v_dual_fmac_f32 v10, 0xbf167918, v34
	v_fmac_f32_e32 v28, 0x3e9e377a, v33
	s_delay_alu instid0(VALU_DEP_4) | instskip(NEXT) | instid1(VALU_DEP_3)
	v_fmac_f32_e32 v26, 0x3e9e377a, v33
	v_fmac_f32_e32 v10, 0x3e9e377a, v4
	ds_store_2addr_b64 v137, v[13:14], v[11:12] offset1:11
	ds_store_2addr_b64 v137, v[15:16], v[0:1] offset0:22 offset1:33
	ds_store_b64 v137, v[5:6] offset:352
	ds_store_2addr_b64 v136, v[21:22], v[19:20] offset1:11
	ds_store_2addr_b64 v136, v[23:24], v[90:91] offset0:22 offset1:33
	ds_store_b64 v136, v[17:18] offset:352
	;; [unrolled: 3-line block ×3, first 2 shown]
	global_wb scope:SCOPE_SE
	s_wait_dscnt 0x0
	s_barrier_signal -1
	s_barrier_wait -1
	global_inv scope:SCOPE_SE
	ds_load_2addr_b64 v[4:7], v132 offset0:110 offset1:165
	ds_load_2addr_b64 v[9:12], v3 offset0:74 offset1:129
	;; [unrolled: 1-line block ×5, first 2 shown]
	ds_load_2addr_b64 v[25:28], v132 offset1:55
	ds_load_2addr_b64 v[29:32], v2 offset0:38 offset1:93
	ds_load_b64 v[0:1], v132 offset:6160
	global_wb scope:SCOPE_SE
	s_wait_dscnt 0x0
	s_barrier_signal -1
	s_barrier_wait -1
	global_inv scope:SCOPE_SE
	v_dual_mul_f32 v33, v49, v7 :: v_dual_mul_f32 v72, v51, v9
	v_mul_f32_e32 v73, v41, v16
	v_mul_f32_e32 v35, v51, v10
	;; [unrolled: 1-line block ×3, first 2 shown]
	s_delay_alu instid0(VALU_DEP_4)
	v_fmac_f32_e32 v33, v48, v6
	v_fma_f32 v72, v50, v10, -v72
	v_dual_fmac_f32 v73, v40, v15 :: v_dual_mul_f32 v10, v43, v18
	v_fmac_f32_e32 v35, v50, v9
	v_fma_f32 v34, v48, v7, -v34
	v_dual_mul_f32 v6, v41, v15 :: v_dual_mul_f32 v7, v43, v17
	v_mul_f32_e32 v74, v49, v22
	v_mul_f32_e32 v9, v49, v21
	v_dual_fmac_f32 v10, v42, v17 :: v_dual_mul_f32 v49, v41, v30
	s_delay_alu instid0(VALU_DEP_4) | instskip(SKIP_2) | instid1(VALU_DEP_4)
	v_fma_f32 v15, v40, v16, -v6
	v_fma_f32 v16, v42, v18, -v7
	v_dual_mul_f32 v6, v51, v11 :: v_dual_mul_f32 v7, v41, v29
	v_fmac_f32_e32 v49, v40, v29
	v_fmac_f32_e32 v74, v48, v21
	v_fma_f32 v48, v48, v22, -v9
	v_mul_f32_e32 v22, v51, v12
	v_mul_f32_e32 v18, v43, v20
	v_fma_f32 v41, v50, v12, -v6
	v_fma_f32 v29, v40, v30, -v7
	v_mul_f32_e32 v6, v43, v19
	v_dual_fmac_f32 v22, v50, v11 :: v_dual_mul_f32 v9, v47, v13
	v_mul_f32_e32 v30, v45, v24
	v_mul_f32_e32 v7, v45, v23
	v_dual_mul_f32 v45, v37, v32 :: v_dual_mul_f32 v40, v47, v14
	v_dual_sub_f32 v12, v34, v16 :: v_dual_add_f32 v17, v33, v10
	s_delay_alu instid0(VALU_DEP_3)
	v_fma_f32 v43, v44, v24, -v7
	v_mul_f32_e32 v7, v37, v31
	v_dual_fmac_f32 v18, v42, v19 :: v_dual_mul_f32 v37, v39, v1
	v_fmac_f32_e32 v30, v44, v23
	v_fma_f32 v44, v46, v14, -v9
	v_add_f32_e32 v9, v25, v33
	v_fma_f32 v42, v42, v20, -v6
	v_dual_fmac_f32 v37, v38, v0 :: v_dual_add_f32 v6, v35, v73
	v_sub_f32_e32 v11, v33, v35
	v_dual_fmac_f32 v45, v36, v31 :: v_dual_fmac_f32 v40, v46, v13
	v_fma_f32 v36, v36, v32, -v7
	v_add_f32_e32 v7, v9, v35
	v_fma_f32 v6, -0.5, v6, v25
	v_dual_sub_f32 v14, v72, v15 :: v_dual_sub_f32 v13, v10, v73
	s_delay_alu instid0(VALU_DEP_3) | instskip(NEXT) | instid1(VALU_DEP_3)
	v_dual_sub_f32 v24, v48, v42 :: v_dual_add_f32 v7, v7, v73
	v_fmamk_f32 v9, v12, 0xbf737871, v6
	v_fmac_f32_e32 v6, 0x3f737871, v12
	s_delay_alu instid0(VALU_DEP_4) | instskip(SKIP_2) | instid1(VALU_DEP_4)
	v_add_f32_e32 v20, v11, v13
	v_mul_f32_e32 v19, v39, v0
	v_fma_f32 v0, -0.5, v17, v25
	v_dual_sub_f32 v25, v18, v49 :: v_dual_fmac_f32 v6, 0x3f167918, v14
	v_add_f32_e32 v11, v7, v10
	s_delay_alu instid0(VALU_DEP_4) | instskip(SKIP_3) | instid1(VALU_DEP_2)
	v_fma_f32 v38, v38, v1, -v19
	v_sub_f32_e32 v1, v35, v33
	v_sub_f32_e32 v7, v73, v10
	v_dual_add_f32 v19, v72, v15 :: v_dual_fmac_f32 v6, 0x3e9e377a, v20
	v_dual_sub_f32 v32, v43, v38 :: v_dual_add_f32 v1, v1, v7
	s_delay_alu instid0(VALU_DEP_2) | instskip(SKIP_3) | instid1(VALU_DEP_3)
	v_fma_f32 v7, -0.5, v19, v26
	v_sub_f32_e32 v19, v33, v10
	v_fmamk_f32 v13, v14, 0x3f737871, v0
	v_dual_fmac_f32 v0, 0xbf737871, v14 :: v_dual_sub_f32 v33, v37, v45
	v_dual_fmamk_f32 v10, v19, 0x3f737871, v7 :: v_dual_sub_f32 v21, v16, v15
	s_delay_alu instid0(VALU_DEP_2) | instskip(NEXT) | instid1(VALU_DEP_1)
	v_dual_fmac_f32 v0, 0x3f167918, v12 :: v_dual_add_f32 v17, v26, v34
	v_fmac_f32_e32 v0, 0x3e9e377a, v1
	s_delay_alu instid0(VALU_DEP_2) | instskip(NEXT) | instid1(VALU_DEP_1)
	v_dual_fmac_f32 v9, 0xbf167918, v14 :: v_dual_add_f32 v14, v17, v72
	v_fmac_f32_e32 v9, 0x3e9e377a, v20
	v_sub_f32_e32 v20, v34, v72
	s_delay_alu instid0(VALU_DEP_3) | instskip(SKIP_2) | instid1(VALU_DEP_3)
	v_dual_fmac_f32 v13, 0xbf167918, v12 :: v_dual_add_f32 v12, v14, v15
	v_add_f32_e32 v14, v34, v16
	v_sub_f32_e32 v15, v15, v16
	v_dual_add_f32 v12, v12, v16 :: v_dual_sub_f32 v17, v35, v73
	v_dual_fmac_f32 v7, 0xbf737871, v19 :: v_dual_add_f32 v16, v22, v49
	v_sub_f32_e32 v35, v40, v45
	s_delay_alu instid0(VALU_DEP_3)
	v_fmac_f32_e32 v10, 0x3f167918, v17
	v_add_f32_e32 v20, v20, v21
	v_fmac_f32_e32 v13, 0x3e9e377a, v1
	v_fma_f32 v1, -0.5, v14, v26
	v_sub_f32_e32 v21, v72, v34
	v_add_f32_e32 v26, v74, v18
	v_fmac_f32_e32 v10, 0x3e9e377a, v20
	v_add_f32_e32 v34, v30, v37
	v_fmamk_f32 v14, v17, 0xbf737871, v1
	v_add_f32_e32 v21, v21, v15
	v_fma_f32 v15, -0.5, v16, v27
	ds_store_2addr_b64 v132, v[11:12], v[9:10] offset1:55
	v_add_nc_u32_e32 v9, 0x1000, v138
	v_dual_fmac_f32 v14, 0x3f167918, v19 :: v_dual_add_f32 v23, v27, v74
	v_fmac_f32_e32 v1, 0x3f737871, v17
	v_fma_f32 v27, -0.5, v26, v27
	v_add_f32_e32 v26, v28, v48
	s_delay_alu instid0(VALU_DEP_4) | instskip(SKIP_4) | instid1(VALU_DEP_4)
	v_fmac_f32_e32 v14, 0x3e9e377a, v21
	v_dual_fmac_f32 v7, 0xbf167918, v17 :: v_dual_add_f32 v16, v23, v22
	v_fmac_f32_e32 v1, 0xbf167918, v19
	v_fmamk_f32 v17, v24, 0xbf737871, v15
	v_sub_f32_e32 v23, v74, v22
	v_dual_fmac_f32 v7, 0x3e9e377a, v20 :: v_dual_sub_f32 v20, v41, v29
	v_add_f32_e32 v16, v16, v49
	v_fmac_f32_e32 v1, 0x3e9e377a, v21
	v_fmac_f32_e32 v15, 0x3f737871, v24
	s_delay_alu instid0(VALU_DEP_4) | instskip(SKIP_3) | instid1(VALU_DEP_4)
	v_fmamk_f32 v21, v20, 0x3f737871, v27
	v_fmac_f32_e32 v27, 0xbf737871, v20
	v_fmac_f32_e32 v17, 0xbf167918, v20
	v_add_f32_e32 v19, v16, v18
	v_dual_sub_f32 v16, v22, v74 :: v_dual_fmac_f32 v21, 0xbf167918, v24
	s_delay_alu instid0(VALU_DEP_4)
	v_dual_fmac_f32 v27, 0x3f167918, v24 :: v_dual_sub_f32 v24, v22, v49
	v_dual_sub_f32 v22, v48, v41 :: v_dual_fmac_f32 v15, 0x3f167918, v20
	v_add_f32_e32 v20, v26, v41
	v_dual_sub_f32 v26, v74, v18 :: v_dual_add_f32 v23, v23, v25
	v_sub_f32_e32 v25, v49, v18
	v_add_f32_e32 v31, v41, v29
	s_delay_alu instid0(VALU_DEP_4) | instskip(NEXT) | instid1(VALU_DEP_3)
	v_add_f32_e32 v20, v20, v29
	v_add_f32_e32 v25, v16, v25
	s_delay_alu instid0(VALU_DEP_3) | instskip(SKIP_3) | instid1(VALU_DEP_4)
	v_fma_f32 v16, -0.5, v31, v28
	v_sub_f32_e32 v31, v42, v29
	v_sub_f32_e32 v29, v29, v42
	v_add_f32_e32 v20, v20, v42
	v_fmamk_f32 v18, v26, 0x3f737871, v16
	v_fmac_f32_e32 v16, 0xbf737871, v26
	v_fmac_f32_e32 v17, 0x3e9e377a, v23
	s_delay_alu instid0(VALU_DEP_3) | instskip(NEXT) | instid1(VALU_DEP_3)
	v_fmac_f32_e32 v18, 0x3f167918, v24
	v_fmac_f32_e32 v16, 0xbf167918, v24
	;; [unrolled: 1-line block ×4, first 2 shown]
	v_add_f32_e32 v25, v22, v31
	v_fmac_f32_e32 v15, 0x3e9e377a, v23
	s_delay_alu instid0(VALU_DEP_2) | instskip(NEXT) | instid1(VALU_DEP_1)
	v_dual_add_f32 v23, v48, v42 :: v_dual_fmac_f32 v16, 0x3e9e377a, v25
	v_fmac_f32_e32 v28, -0.5, v23
	s_delay_alu instid0(VALU_DEP_1) | instskip(SKIP_2) | instid1(VALU_DEP_3)
	v_fmamk_f32 v22, v24, 0xbf737871, v28
	v_fmac_f32_e32 v28, 0x3f737871, v24
	v_add_f32_e32 v24, v4, v30
	v_fmac_f32_e32 v22, 0x3f167918, v26
	s_delay_alu instid0(VALU_DEP_3) | instskip(NEXT) | instid1(VALU_DEP_3)
	v_fmac_f32_e32 v28, 0xbf167918, v26
	v_add_f32_e32 v24, v24, v40
	v_sub_f32_e32 v23, v41, v48
	v_sub_f32_e32 v26, v44, v36
	v_add_f32_e32 v31, v40, v45
	s_delay_alu instid0(VALU_DEP_4) | instskip(NEXT) | instid1(VALU_DEP_4)
	v_add_f32_e32 v24, v24, v45
	v_add_f32_e32 v29, v23, v29
	s_delay_alu instid0(VALU_DEP_3) | instskip(SKIP_2) | instid1(VALU_DEP_4)
	v_fma_f32 v23, -0.5, v31, v4
	v_sub_f32_e32 v31, v30, v40
	v_fma_f32 v4, -0.5, v34, v4
	v_fmac_f32_e32 v28, 0x3e9e377a, v29
	v_fmac_f32_e32 v22, 0x3e9e377a, v29
	;; [unrolled: 1-line block ×3, first 2 shown]
	v_dual_fmamk_f32 v25, v32, 0xbf737871, v23 :: v_dual_sub_f32 v34, v45, v37
	v_fmac_f32_e32 v23, 0x3f737871, v32
	v_add_f32_e32 v31, v31, v33
	v_sub_f32_e32 v33, v40, v30
	s_delay_alu instid0(VALU_DEP_4) | instskip(NEXT) | instid1(VALU_DEP_4)
	v_dual_fmac_f32 v25, 0xbf167918, v26 :: v_dual_sub_f32 v30, v30, v37
	v_fmac_f32_e32 v23, 0x3f167918, v26
	v_add_f32_e32 v29, v24, v37
	s_delay_alu instid0(VALU_DEP_3)
	v_dual_add_f32 v24, v44, v36 :: v_dual_fmac_f32 v25, 0x3e9e377a, v31
	v_sub_f32_e32 v37, v38, v36
	v_add_f32_e32 v33, v33, v34
	v_fmac_f32_e32 v23, 0x3e9e377a, v31
	v_fmamk_f32 v31, v26, 0x3f737871, v4
	v_fmac_f32_e32 v4, 0xbf737871, v26
	v_add_f32_e32 v26, v5, v43
	v_fma_f32 v24, -0.5, v24, v5
	v_add_f32_e32 v34, v43, v38
	s_delay_alu instid0(VALU_DEP_1)
	v_dual_fmac_f32 v4, 0x3f167918, v32 :: v_dual_fmac_f32 v5, -0.5, v34
	v_sub_f32_e32 v34, v43, v44
	v_fmac_f32_e32 v31, 0xbf167918, v32
	v_add_f32_e32 v32, v26, v44
	v_fmamk_f32 v26, v30, 0x3f737871, v24
	v_fmac_f32_e32 v24, 0xbf737871, v30
	v_add_f32_e32 v34, v34, v37
	v_fmac_f32_e32 v31, 0x3e9e377a, v33
	v_dual_fmac_f32 v4, 0x3e9e377a, v33 :: v_dual_add_f32 v33, v32, v36
	s_delay_alu instid0(VALU_DEP_4) | instskip(SKIP_3) | instid1(VALU_DEP_3)
	v_fmac_f32_e32 v24, 0xbf167918, v35
	v_fmac_f32_e32 v26, 0x3f167918, v35
	v_dual_fmamk_f32 v32, v35, 0xbf737871, v5 :: v_dual_sub_f32 v39, v44, v43
	v_dual_sub_f32 v36, v36, v38 :: v_dual_fmac_f32 v5, 0x3f737871, v35
	v_fmac_f32_e32 v26, 0x3e9e377a, v34
	s_delay_alu instid0(VALU_DEP_3) | instskip(NEXT) | instid1(VALU_DEP_3)
	v_fmac_f32_e32 v32, 0x3f167918, v30
	v_dual_fmac_f32 v24, 0x3e9e377a, v34 :: v_dual_add_f32 v35, v39, v36
	s_delay_alu instid0(VALU_DEP_4) | instskip(SKIP_1) | instid1(VALU_DEP_3)
	v_fmac_f32_e32 v5, 0xbf167918, v30
	v_add_f32_e32 v30, v33, v38
	v_fmac_f32_e32 v32, 0x3e9e377a, v35
	s_delay_alu instid0(VALU_DEP_3)
	v_fmac_f32_e32 v5, 0x3e9e377a, v35
	ds_store_2addr_b64 v132, v[13:14], v[0:1] offset0:110 offset1:165
	ds_store_2addr_b64 v8, v[6:7], v[19:20] offset0:92 offset1:147
	;; [unrolled: 1-line block ×6, first 2 shown]
	ds_store_b64 v138, v[23:24] offset:6160
	global_wb scope:SCOPE_SE
	s_wait_dscnt 0x0
	s_barrier_signal -1
	s_barrier_wait -1
	global_inv scope:SCOPE_SE
	ds_load_2addr_b64 v[4:7], v8 offset0:92 offset1:147
	ds_load_2addr_b64 v[9:12], v2 offset0:38 offset1:93
	;; [unrolled: 1-line block ×3, first 2 shown]
	ds_load_2addr_b64 v[17:20], v132 offset1:55
	ds_load_2addr_b64 v[21:24], v132 offset0:110 offset1:165
	ds_load_2addr_b64 v[25:28], v2 offset0:148 offset1:203
	;; [unrolled: 1-line block ×3, first 2 shown]
	ds_load_b64 v[0:1], v132 offset:6160
	s_wait_dscnt 0x7
	v_mul_f32_e32 v34, v69, v6
	s_wait_dscnt 0x6
	v_dual_mul_f32 v33, v69, v7 :: v_dual_mul_f32 v36, v67, v12
	v_mul_f32_e32 v35, v71, v10
	s_wait_dscnt 0x5
	v_mul_f32_e32 v37, v61, v16
	v_fma_f32 v7, v68, v7, -v34
	v_mul_f32_e32 v34, v65, v14
	v_fmac_f32_e32 v36, v66, v11
	s_wait_dscnt 0x2
	v_dual_fmac_f32 v35, v70, v9 :: v_dual_mul_f32 v38, v63, v26
	s_wait_dscnt 0x1
	v_dual_mul_f32 v39, v57, v30 :: v_dual_fmac_f32 v34, v64, v13
	v_dual_fmac_f32 v33, v68, v6 :: v_dual_mul_f32 v6, v71, v9
	v_mul_f32_e32 v9, v65, v13
	v_fmac_f32_e32 v38, v62, v25
	s_wait_dscnt 0x0
	v_mul_f32_e32 v40, v55, v1
	v_fma_f32 v10, v70, v10, -v6
	v_dual_mul_f32 v6, v67, v11 :: v_dual_add_f32 v11, v17, v33
	s_delay_alu instid0(VALU_DEP_3) | instskip(NEXT) | instid1(VALU_DEP_2)
	v_fmac_f32_e32 v40, v54, v0
	v_fma_f32 v12, v66, v12, -v6
	v_dual_mul_f32 v6, v63, v25 :: v_dual_fmac_f32 v37, v60, v15
	s_delay_alu instid0(VALU_DEP_1) | instskip(SKIP_4) | instid1(VALU_DEP_4)
	v_fma_f32 v25, v62, v26, -v6
	v_mul_f32_e32 v26, v59, v28
	v_fma_f32 v13, v64, v14, -v9
	v_mul_f32_e32 v9, v61, v15
	v_dual_mul_f32 v6, v59, v27 :: v_dual_fmac_f32 v39, v56, v29
	v_fmac_f32_e32 v26, v58, v27
	v_sub_f32_e32 v14, v7, v10
	s_delay_alu instid0(VALU_DEP_4) | instskip(SKIP_3) | instid1(VALU_DEP_3)
	v_fma_f32 v16, v60, v16, -v9
	v_mul_f32_e32 v9, v57, v29
	v_fma_f32 v28, v58, v28, -v6
	v_mul_f32_e32 v6, v55, v0
	;; [unrolled: 2-line block ×3, first 2 shown]
	v_mul_f32_e32 v9, v53, v31
	v_add_f32_e32 v27, v16, v25
	s_delay_alu instid0(VALU_DEP_3) | instskip(NEXT) | instid1(VALU_DEP_3)
	v_fmac_f32_e32 v30, v52, v31
	v_fma_f32 v31, v52, v32, -v9
	v_add_f32_e32 v9, v33, v35
	v_fma_f32 v32, v54, v1, -v6
	v_add_f32_e32 v1, v7, v10
	v_add_f32_e32 v7, v18, v7
	s_delay_alu instid0(VALU_DEP_4) | instskip(SKIP_2) | instid1(VALU_DEP_4)
	v_fma_f32 v0, -0.5, v9, v17
	v_add_f32_e32 v6, v11, v35
	v_sub_f32_e32 v11, v33, v35
	v_add_f32_e32 v7, v7, v10
	v_add_f32_e32 v17, v13, v12
	v_fmamk_f32 v9, v14, 0xbf5db3d7, v0
	v_fmac_f32_e32 v0, 0x3f5db3d7, v14
	v_add_f32_e32 v14, v34, v36
	v_fma_f32 v1, -0.5, v1, v18
	v_dual_add_f32 v15, v19, v34 :: v_dual_add_f32 v18, v21, v37
	v_sub_f32_e32 v33, v16, v25
	s_delay_alu instid0(VALU_DEP_4) | instskip(NEXT) | instid1(VALU_DEP_4)
	v_fma_f32 v19, -0.5, v14, v19
	v_fmamk_f32 v10, v11, 0x3f5db3d7, v1
	v_dual_fmac_f32 v1, 0xbf5db3d7, v11 :: v_dual_sub_f32 v14, v13, v12
	v_add_f32_e32 v11, v15, v36
	v_add_f32_e32 v15, v20, v13
	v_dual_fmac_f32 v20, -0.5, v17 :: v_dual_sub_f32 v17, v34, v36
	s_delay_alu instid0(VALU_DEP_4) | instskip(SKIP_1) | instid1(VALU_DEP_3)
	v_fmamk_f32 v13, v14, 0xbf5db3d7, v19
	v_dual_fmac_f32 v19, 0x3f5db3d7, v14 :: v_dual_sub_f32 v34, v29, v28
	v_dual_sub_f32 v35, v31, v32 :: v_dual_fmamk_f32 v14, v17, 0x3f5db3d7, v20
	v_dual_fmac_f32 v20, 0xbf5db3d7, v17 :: v_dual_add_f32 v17, v18, v38
	v_add_f32_e32 v18, v22, v16
	v_add_f32_e32 v12, v15, v12
	v_fma_f32 v16, -0.5, v27, v22
	v_sub_f32_e32 v27, v37, v38
	s_delay_alu instid0(VALU_DEP_4) | instskip(SKIP_1) | instid1(VALU_DEP_3)
	v_dual_add_f32 v15, v37, v38 :: v_dual_add_f32 v18, v18, v25
	v_add_f32_e32 v36, v5, v31
	v_fmamk_f32 v22, v27, 0x3f5db3d7, v16
	s_delay_alu instid0(VALU_DEP_3) | instskip(SKIP_2) | instid1(VALU_DEP_3)
	v_fma_f32 v15, -0.5, v15, v21
	v_dual_fmac_f32 v16, 0xbf5db3d7, v27 :: v_dual_add_f32 v27, v29, v28
	v_add_f32_e32 v29, v24, v29
	v_fmamk_f32 v21, v33, 0xbf5db3d7, v15
	v_fmac_f32_e32 v15, 0x3f5db3d7, v33
	v_add_f32_e32 v33, v23, v39
	v_dual_fmac_f32 v24, -0.5, v27 :: v_dual_add_f32 v25, v39, v26
	s_delay_alu instid0(VALU_DEP_1) | instskip(NEXT) | instid1(VALU_DEP_3)
	v_fma_f32 v23, -0.5, v25, v23
	v_add_f32_e32 v25, v33, v26
	v_dual_sub_f32 v33, v39, v26 :: v_dual_add_f32 v26, v29, v28
	s_delay_alu instid0(VALU_DEP_3) | instskip(NEXT) | instid1(VALU_DEP_2)
	v_fmamk_f32 v27, v34, 0xbf5db3d7, v23
	v_dual_fmac_f32 v23, 0x3f5db3d7, v34 :: v_dual_fmamk_f32 v28, v33, 0x3f5db3d7, v24
	v_dual_fmac_f32 v24, 0xbf5db3d7, v33 :: v_dual_add_f32 v33, v31, v32
	s_delay_alu instid0(VALU_DEP_1) | instskip(SKIP_3) | instid1(VALU_DEP_3)
	v_dual_add_f32 v34, v4, v30 :: v_dual_fmac_f32 v5, -0.5, v33
	v_sub_f32_e32 v33, v30, v40
	v_add_f32_e32 v29, v30, v40
	v_add_f32_e32 v30, v36, v32
	v_fmamk_f32 v32, v33, 0x3f5db3d7, v5
	s_delay_alu instid0(VALU_DEP_3) | instskip(SKIP_2) | instid1(VALU_DEP_3)
	v_fma_f32 v4, -0.5, v29, v4
	v_fmac_f32_e32 v5, 0xbf5db3d7, v33
	v_add_f32_e32 v29, v34, v40
	v_fmamk_f32 v31, v35, 0xbf5db3d7, v4
	v_fmac_f32_e32 v4, 0x3f5db3d7, v35
	ds_store_b64 v132, v[9:10] offset:2200
	ds_store_b64 v132, v[0:1] offset:4400
	ds_store_2addr_b64 v132, v[6:7], v[11:12] offset1:55
	ds_store_2addr_b64 v3, v[13:14], v[21:22] offset0:74 offset1:129
	ds_store_2addr_b64 v2, v[19:20], v[15:16] offset0:93 offset1:148
	;; [unrolled: 1-line block ×3, first 2 shown]
	ds_store_b64 v132, v[23:24] offset:5720
	ds_store_b64 v132, v[29:30] offset:1760
	ds_store_2addr_b64 v3, v[27:28], v[31:32] offset0:184 offset1:239
	ds_store_b64 v132, v[4:5] offset:6160
	global_wb scope:SCOPE_SE
	s_wait_dscnt 0x0
	s_barrier_signal -1
	s_barrier_wait -1
	global_inv scope:SCOPE_SE
	ds_load_2addr_b64 v[4:7], v132 offset1:75
	ds_load_2addr_b64 v[9:12], v132 offset0:150 offset1:225
	v_mad_co_u64_u32 v[25:26], null, s6, v107, 0
	ds_load_2addr_b64 v[13:16], v3 offset0:44 offset1:119
	v_mad_co_u64_u32 v[29:30], null, s4, v133, 0
	s_wait_dscnt 0x2
	v_mul_f32_e32 v0, v129, v5
	v_mul_f32_e32 v1, v129, v4
	s_wait_dscnt 0x1
	v_dual_mul_f32 v17, v127, v7 :: v_dual_mul_f32 v18, v121, v10
	v_mul_f32_e32 v21, v111, v12
	v_fmac_f32_e32 v0, v128, v4
	v_fma_f32 v4, v128, v5, -v1
	s_wait_dscnt 0x0
	v_mul_f32_e32 v38, v119, v16
	v_dual_fmac_f32 v18, v120, v9 :: v_dual_fmac_f32 v21, v110, v11
	v_cvt_f64_f32_e32 v[0:1], v0
	v_cvt_f64_f32_e32 v[4:5], v4
	v_mul_f32_e32 v39, v119, v15
	s_delay_alu instid0(VALU_DEP_4) | instskip(SKIP_2) | instid1(VALU_DEP_1)
	v_cvt_f64_f32_e32 v[31:32], v18
	v_cvt_f64_f32_e32 v[35:36], v21
	v_dual_fmac_f32 v38, v118, v15 :: v_dual_mul_f32 v37, v117, v14
	v_fmac_f32_e32 v37, v116, v13
	s_wait_alu 0xfffe
	v_mul_f64_e32 v[0:1], s[2:3], v[0:1]
	v_mul_f64_e32 v[27:28], s[2:3], v[4:5]
	v_mul_f32_e32 v4, v127, v6
	v_mul_f64_e32 v[31:32], s[2:3], v[31:32]
	s_delay_alu instid0(VALU_DEP_2)
	v_fma_f32 v7, v126, v7, -v4
	v_add_nc_u32_e32 v4, 0xc00, v132
	v_cvt_f32_f64_e32 v0, v[0:1]
	v_mad_co_u64_u32 v[53:54], null, s7, v107, v[26:27]
	v_fmac_f32_e32 v17, v126, v6
	v_cvt_f32_f64_e32 v1, v[27:28]
	v_mul_f64_e32 v[27:28], s[2:3], v[35:36]
	v_cvt_f32_f64_e32 v31, v[31:32]
	v_mov_b32_e32 v26, v53
	v_cvt_f64_f32_e32 v[5:6], v17
	v_mul_f32_e32 v17, v121, v9
	s_delay_alu instid0(VALU_DEP_3) | instskip(NEXT) | instid1(VALU_DEP_2)
	v_lshlrev_b64_e32 v[25:26], 3, v[25:26]
	v_fma_f32 v22, v120, v10, -v17
	ds_load_2addr_b64 v[17:20], v4 offset0:66 offset1:141
	v_cvt_f64_f32_e32 v[9:10], v7
	v_mul_f32_e32 v7, v111, v11
	v_mul_f32_e32 v11, v117, v13
	v_cvt_f64_f32_e32 v[33:34], v22
	ds_load_2addr_b64 v[21:24], v2 offset0:88 offset1:163
	v_fma_f32 v7, v110, v12, -v7
	v_fma_f32 v40, v116, v14, -v11
	v_cvt_f64_f32_e32 v[13:14], v37
	v_cvt_f64_f32_e32 v[37:38], v38
	s_delay_alu instid0(VALU_DEP_4)
	v_cvt_f64_f32_e32 v[11:12], v7
	v_fma_f32 v7, v118, v16, -v39
	v_cvt_f64_f32_e32 v[15:16], v40
	ds_load_b64 v[39:40], v132 offset:6000
	v_cvt_f64_f32_e32 v[41:42], v7
	s_wait_dscnt 0x2
	v_mul_f32_e32 v7, v109, v18
	v_mul_f32_e32 v43, v109, v17
	;; [unrolled: 1-line block ×4, first 2 shown]
	s_delay_alu instid0(VALU_DEP_4)
	v_fmac_f32_e32 v7, v108, v17
	s_wait_dscnt 0x1
	v_mul_f32_e32 v47, v115, v22
	v_fma_f32 v43, v108, v18, -v43
	v_dual_mul_f32 v49, v123, v24 :: v_dual_fmac_f32 v44, v112, v19
	v_cvt_f64_f32_e32 v[17:18], v7
	v_mul_f32_e32 v7, v115, v21
	v_fmac_f32_e32 v47, v114, v21
	v_mul_f32_e32 v21, v123, v23
	v_fma_f32 v45, v112, v20, -v45
	s_wait_dscnt 0x0
	v_mul_f32_e32 v50, v125, v40
	v_mul_f32_e32 v51, v125, v39
	v_fma_f32 v7, v114, v22, -v7
	v_fmac_f32_e32 v49, v122, v23
	v_fma_f32 v52, v122, v24, -v21
	v_fmac_f32_e32 v50, v124, v39
	v_fma_f32 v51, v124, v40, -v51
	v_cvt_f64_f32_e32 v[19:20], v43
	v_cvt_f64_f32_e32 v[43:44], v44
	;; [unrolled: 1-line block ×9, first 2 shown]
	v_mul_f64_e32 v[5:6], s[2:3], v[5:6]
	v_mul_f64_e32 v[9:10], s[2:3], v[9:10]
	v_mov_b32_e32 v7, v30
	v_mul_f64_e32 v[33:34], s[2:3], v[33:34]
	v_mul_f64_e32 v[11:12], s[2:3], v[11:12]
	v_mul_f64_e32 v[13:14], s[2:3], v[13:14]
	v_mul_f64_e32 v[15:16], s[2:3], v[15:16]
	v_mad_co_u64_u32 v[54:55], null, s5, v133, v[7:8]
	v_add_co_u32 v7, s0, s10, v25
	s_wait_alu 0xf1ff
	v_add_co_ci_u32_e64 v53, s0, s11, v26, s0
	v_mul_f64_e32 v[35:36], s[2:3], v[41:42]
	v_cvt_f32_f64_e32 v27, v[27:28]
	v_mov_b32_e32 v30, v54
	v_mul_f64_e32 v[17:18], s[2:3], v[17:18]
	s_delay_alu instid0(VALU_DEP_2) | instskip(SKIP_1) | instid1(VALU_DEP_2)
	v_lshlrev_b64_e32 v[25:26], 3, v[29:30]
	v_mul_f64_e32 v[29:30], s[2:3], v[37:38]
	v_add_co_u32 v25, s0, v7, v25
	s_wait_alu 0xf1ff
	s_delay_alu instid0(VALU_DEP_3)
	v_add_co_ci_u32_e64 v26, s0, v53, v26, s0
	v_mul_f64_e32 v[19:20], s[2:3], v[19:20]
	v_mul_f64_e32 v[37:38], s[2:3], v[43:44]
	;; [unrolled: 1-line block ×9, first 2 shown]
	v_cvt_f32_f64_e32 v5, v[5:6]
	v_cvt_f32_f64_e32 v6, v[9:10]
	s_mul_u64 s[0:1], s[4:5], 0x4b
	v_cvt_f32_f64_e32 v32, v[33:34]
	v_cvt_f32_f64_e32 v28, v[11:12]
	s_wait_alu 0xfffe
	s_lshl_b64 s[6:7], s[0:1], 3
	v_cvt_f32_f64_e32 v11, v[13:14]
	s_wait_alu 0xfffe
	v_add_co_u32 v9, s0, v25, s6
	s_wait_alu 0xf1ff
	v_add_co_ci_u32_e64 v10, s0, s7, v26, s0
	v_cvt_f32_f64_e32 v12, v[15:16]
	s_delay_alu instid0(VALU_DEP_3) | instskip(SKIP_1) | instid1(VALU_DEP_3)
	v_add_co_u32 v33, s0, v9, s6
	s_wait_alu 0xf1ff
	v_add_co_ci_u32_e64 v34, s0, s7, v10, s0
	v_cvt_f32_f64_e32 v16, v[35:36]
	s_delay_alu instid0(VALU_DEP_3) | instskip(SKIP_1) | instid1(VALU_DEP_3)
	v_add_co_u32 v13, s0, v33, s6
	s_wait_alu 0xf1ff
	v_add_co_ci_u32_e64 v14, s0, s7, v34, s0
	v_cvt_f32_f64_e32 v15, v[29:30]
	v_cvt_f32_f64_e32 v17, v[17:18]
	v_add_co_u32 v35, s0, v13, s6
	s_wait_alu 0xf1ff
	v_add_co_ci_u32_e64 v36, s0, s7, v14, s0
	global_store_b64 v[25:26], v[0:1], off
	v_add_co_u32 v0, s0, v35, s6
	v_cvt_f32_f64_e32 v18, v[19:20]
	v_cvt_f32_f64_e32 v19, v[37:38]
	v_cvt_f32_f64_e32 v20, v[41:42]
	v_cvt_f32_f64_e32 v29, v[43:44]
	v_cvt_f32_f64_e32 v30, v[21:22]
	v_cvt_f32_f64_e32 v21, v[23:24]
	v_cvt_f32_f64_e32 v22, v[39:40]
	v_cvt_f32_f64_e32 v23, v[45:46]
	v_cvt_f32_f64_e32 v24, v[47:48]
	s_wait_alu 0xf1ff
	v_add_co_ci_u32_e64 v1, s0, s7, v36, s0
	global_store_b64 v[9:10], v[5:6], off
	v_add_co_u32 v5, s0, v0, s6
	s_wait_alu 0xf1ff
	v_add_co_ci_u32_e64 v6, s0, s7, v1, s0
	global_store_b64 v[33:34], v[31:32], off
	v_add_co_u32 v9, s0, v5, s6
	;; [unrolled: 4-line block ×5, first 2 shown]
	s_wait_alu 0xf1ff
	v_add_co_ci_u32_e64 v1, s0, s7, v12, s0
	global_store_b64 v[5:6], v[17:18], off
	global_store_b64 v[9:10], v[19:20], off
	;; [unrolled: 1-line block ×5, first 2 shown]
	s_and_b32 exec_lo, exec_lo, vcc_lo
	s_cbranch_execz .LBB0_15
; %bb.14:
	global_load_b64 v[5:6], v[105:106], off offset:440
	ds_load_2addr_b64 v[9:12], v132 offset0:55 offset1:130
	v_mad_co_u64_u32 v[0:1], null, 0xffffea48, s4, v[0:1]
	s_mul_i32 s0, s5, 0xffffea48
	s_wait_alu 0xfffe
	s_sub_co_i32 s0, s0, s4
	s_wait_alu 0xfffe
	s_delay_alu instid0(VALU_DEP_1) | instskip(SKIP_3) | instid1(VALU_DEP_2)
	v_add_nc_u32_e32 v1, s0, v1
	s_wait_loadcnt_dscnt 0x0
	v_mul_f32_e32 v7, v10, v6
	v_mul_f32_e32 v6, v9, v6
	v_fmac_f32_e32 v7, v9, v5
	s_delay_alu instid0(VALU_DEP_2) | instskip(NEXT) | instid1(VALU_DEP_2)
	v_fma_f32 v9, v5, v10, -v6
	v_cvt_f64_f32_e32 v[5:6], v7
	s_delay_alu instid0(VALU_DEP_2) | instskip(NEXT) | instid1(VALU_DEP_2)
	v_cvt_f64_f32_e32 v[9:10], v9
	v_mul_f64_e32 v[5:6], s[2:3], v[5:6]
	s_delay_alu instid0(VALU_DEP_2) | instskip(NEXT) | instid1(VALU_DEP_2)
	v_mul_f64_e32 v[9:10], s[2:3], v[9:10]
	v_cvt_f32_f64_e32 v5, v[5:6]
	s_delay_alu instid0(VALU_DEP_2)
	v_cvt_f32_f64_e32 v6, v[9:10]
	global_store_b64 v[0:1], v[5:6], off
	global_load_b64 v[5:6], v[105:106], off offset:1040
	v_add_co_u32 v0, vcc_lo, v0, s6
	s_wait_alu 0xfffd
	v_add_co_ci_u32_e32 v1, vcc_lo, s7, v1, vcc_lo
	s_wait_loadcnt 0x0
	v_mul_f32_e32 v7, v12, v6
	v_mul_f32_e32 v6, v11, v6
	s_delay_alu instid0(VALU_DEP_2) | instskip(NEXT) | instid1(VALU_DEP_2)
	v_fmac_f32_e32 v7, v11, v5
	v_fma_f32 v9, v5, v12, -v6
	s_delay_alu instid0(VALU_DEP_2) | instskip(NEXT) | instid1(VALU_DEP_2)
	v_cvt_f64_f32_e32 v[5:6], v7
	v_cvt_f64_f32_e32 v[9:10], v9
	s_delay_alu instid0(VALU_DEP_2) | instskip(NEXT) | instid1(VALU_DEP_2)
	v_mul_f64_e32 v[5:6], s[2:3], v[5:6]
	v_mul_f64_e32 v[9:10], s[2:3], v[9:10]
	s_delay_alu instid0(VALU_DEP_2) | instskip(NEXT) | instid1(VALU_DEP_2)
	v_cvt_f32_f64_e32 v5, v[5:6]
	v_cvt_f32_f64_e32 v6, v[9:10]
	global_store_b64 v[0:1], v[5:6], off
	global_load_b64 v[9:10], v[105:106], off offset:1640
	ds_load_2addr_b64 v[5:8], v8 offset0:77 offset1:152
	v_add_co_u32 v0, vcc_lo, v0, s6
	s_wait_alu 0xfffd
	v_add_co_ci_u32_e32 v1, vcc_lo, s7, v1, vcc_lo
	s_wait_loadcnt_dscnt 0x0
	v_mul_f32_e32 v11, v6, v10
	v_mul_f32_e32 v10, v5, v10
	s_delay_alu instid0(VALU_DEP_2) | instskip(NEXT) | instid1(VALU_DEP_2)
	v_fmac_f32_e32 v11, v5, v9
	v_fma_f32 v9, v9, v6, -v10
	s_delay_alu instid0(VALU_DEP_2) | instskip(NEXT) | instid1(VALU_DEP_2)
	v_cvt_f64_f32_e32 v[5:6], v11
	v_cvt_f64_f32_e32 v[9:10], v9
	s_delay_alu instid0(VALU_DEP_2) | instskip(NEXT) | instid1(VALU_DEP_2)
	v_mul_f64_e32 v[5:6], s[2:3], v[5:6]
	v_mul_f64_e32 v[9:10], s[2:3], v[9:10]
	s_delay_alu instid0(VALU_DEP_2) | instskip(NEXT) | instid1(VALU_DEP_2)
	v_cvt_f32_f64_e32 v5, v[5:6]
	v_cvt_f32_f64_e32 v6, v[9:10]
	global_store_b64 v[0:1], v[5:6], off
	global_load_b64 v[5:6], v[105:106], off offset:2240
	v_add_co_u32 v0, vcc_lo, v0, s6
	s_wait_alu 0xfffd
	v_add_co_ci_u32_e32 v1, vcc_lo, s7, v1, vcc_lo
	s_wait_loadcnt 0x0
	v_mul_f32_e32 v9, v8, v6
	v_mul_f32_e32 v6, v7, v6
	s_delay_alu instid0(VALU_DEP_2) | instskip(NEXT) | instid1(VALU_DEP_2)
	v_fmac_f32_e32 v9, v7, v5
	v_fma_f32 v7, v5, v8, -v6
	s_delay_alu instid0(VALU_DEP_2) | instskip(NEXT) | instid1(VALU_DEP_2)
	v_cvt_f64_f32_e32 v[5:6], v9
	v_cvt_f64_f32_e32 v[7:8], v7
	s_delay_alu instid0(VALU_DEP_2) | instskip(NEXT) | instid1(VALU_DEP_2)
	v_mul_f64_e32 v[5:6], s[2:3], v[5:6]
	v_mul_f64_e32 v[7:8], s[2:3], v[7:8]
	s_delay_alu instid0(VALU_DEP_2) | instskip(NEXT) | instid1(VALU_DEP_2)
	v_cvt_f32_f64_e32 v5, v[5:6]
	v_cvt_f32_f64_e32 v6, v[7:8]
	global_store_b64 v[0:1], v[5:6], off
	global_load_b64 v[9:10], v[105:106], off offset:2840
	ds_load_2addr_b64 v[5:8], v3 offset0:99 offset1:174
	v_add_co_u32 v0, vcc_lo, v0, s6
	s_wait_alu 0xfffd
	v_add_co_ci_u32_e32 v1, vcc_lo, s7, v1, vcc_lo
	s_wait_loadcnt_dscnt 0x0
	v_mul_f32_e32 v3, v6, v10
	v_mul_f32_e32 v10, v5, v10
	s_delay_alu instid0(VALU_DEP_2) | instskip(NEXT) | instid1(VALU_DEP_2)
	v_fmac_f32_e32 v3, v5, v9
	v_fma_f32 v9, v9, v6, -v10
	s_delay_alu instid0(VALU_DEP_2) | instskip(NEXT) | instid1(VALU_DEP_2)
	v_cvt_f64_f32_e32 v[5:6], v3
	v_cvt_f64_f32_e32 v[9:10], v9
	s_delay_alu instid0(VALU_DEP_2) | instskip(NEXT) | instid1(VALU_DEP_2)
	v_mul_f64_e32 v[5:6], s[2:3], v[5:6]
	v_mul_f64_e32 v[9:10], s[2:3], v[9:10]
	s_delay_alu instid0(VALU_DEP_2) | instskip(NEXT) | instid1(VALU_DEP_2)
	v_cvt_f32_f64_e32 v5, v[5:6]
	;; [unrolled: 41-line block ×3, first 2 shown]
	v_cvt_f32_f64_e32 v4, v[7:8]
	global_store_b64 v[0:1], v[3:4], off
	global_load_b64 v[3:4], v[105:106], off offset:4640
	s_wait_loadcnt 0x0
	v_mul_f32_e32 v7, v6, v4
	v_mul_f32_e32 v4, v5, v4
	s_delay_alu instid0(VALU_DEP_2) | instskip(NEXT) | instid1(VALU_DEP_2)
	v_fmac_f32_e32 v7, v5, v3
	v_fma_f32 v5, v3, v6, -v4
	s_delay_alu instid0(VALU_DEP_2) | instskip(NEXT) | instid1(VALU_DEP_2)
	v_cvt_f64_f32_e32 v[3:4], v7
	v_cvt_f64_f32_e32 v[5:6], v5
	s_delay_alu instid0(VALU_DEP_2) | instskip(NEXT) | instid1(VALU_DEP_2)
	v_mul_f64_e32 v[3:4], s[2:3], v[3:4]
	v_mul_f64_e32 v[5:6], s[2:3], v[5:6]
	s_delay_alu instid0(VALU_DEP_2) | instskip(NEXT) | instid1(VALU_DEP_2)
	v_cvt_f32_f64_e32 v3, v[3:4]
	v_cvt_f32_f64_e32 v4, v[5:6]
	v_add_co_u32 v5, vcc_lo, v0, s6
	s_wait_alu 0xfffd
	v_add_co_ci_u32_e32 v6, vcc_lo, s7, v1, vcc_lo
	global_store_b64 v[5:6], v[3:4], off
	global_load_b64 v[7:8], v[105:106], off offset:5240
	ds_load_2addr_b64 v[0:3], v2 offset0:143 offset1:218
	s_wait_loadcnt_dscnt 0x0
	v_mul_f32_e32 v4, v1, v8
	v_mul_f32_e32 v8, v0, v8
	s_delay_alu instid0(VALU_DEP_2) | instskip(NEXT) | instid1(VALU_DEP_2)
	v_fmac_f32_e32 v4, v0, v7
	v_fma_f32 v7, v7, v1, -v8
	s_delay_alu instid0(VALU_DEP_2) | instskip(NEXT) | instid1(VALU_DEP_2)
	v_cvt_f64_f32_e32 v[0:1], v4
	v_cvt_f64_f32_e32 v[7:8], v7
	v_add_co_u32 v4, vcc_lo, v5, s6
	s_wait_alu 0xfffd
	v_add_co_ci_u32_e32 v5, vcc_lo, s7, v6, vcc_lo
	s_delay_alu instid0(VALU_DEP_4) | instskip(NEXT) | instid1(VALU_DEP_4)
	v_mul_f64_e32 v[0:1], s[2:3], v[0:1]
	v_mul_f64_e32 v[7:8], s[2:3], v[7:8]
	s_delay_alu instid0(VALU_DEP_2) | instskip(NEXT) | instid1(VALU_DEP_2)
	v_cvt_f32_f64_e32 v0, v[0:1]
	v_cvt_f32_f64_e32 v1, v[7:8]
	global_store_b64 v[4:5], v[0:1], off
	global_load_b64 v[0:1], v[105:106], off offset:5840
	s_wait_loadcnt 0x0
	v_mul_f32_e32 v6, v3, v1
	v_mul_f32_e32 v1, v2, v1
	s_delay_alu instid0(VALU_DEP_2) | instskip(NEXT) | instid1(VALU_DEP_2)
	v_fmac_f32_e32 v6, v2, v0
	v_fma_f32 v2, v0, v3, -v1
	s_delay_alu instid0(VALU_DEP_2) | instskip(NEXT) | instid1(VALU_DEP_2)
	v_cvt_f64_f32_e32 v[0:1], v6
	v_cvt_f64_f32_e32 v[2:3], v2
	s_delay_alu instid0(VALU_DEP_2) | instskip(NEXT) | instid1(VALU_DEP_2)
	v_mul_f64_e32 v[0:1], s[2:3], v[0:1]
	v_mul_f64_e32 v[2:3], s[2:3], v[2:3]
	s_delay_alu instid0(VALU_DEP_2) | instskip(NEXT) | instid1(VALU_DEP_2)
	v_cvt_f32_f64_e32 v0, v[0:1]
	v_cvt_f32_f64_e32 v1, v[2:3]
	v_add_co_u32 v2, vcc_lo, v4, s6
	s_wait_alu 0xfffd
	v_add_co_ci_u32_e32 v3, vcc_lo, s7, v5, vcc_lo
	ds_load_b64 v[4:5], v132 offset:6440
	global_store_b64 v[2:3], v[0:1], off
	global_load_b64 v[0:1], v[105:106], off offset:6440
	v_add_co_u32 v2, vcc_lo, v2, s6
	s_wait_alu 0xfffd
	v_add_co_ci_u32_e32 v3, vcc_lo, s7, v3, vcc_lo
	s_wait_loadcnt_dscnt 0x0
	v_mul_f32_e32 v6, v5, v1
	v_mul_f32_e32 v1, v4, v1
	s_delay_alu instid0(VALU_DEP_2) | instskip(NEXT) | instid1(VALU_DEP_2)
	v_fmac_f32_e32 v6, v4, v0
	v_fma_f32 v4, v0, v5, -v1
	s_delay_alu instid0(VALU_DEP_2) | instskip(NEXT) | instid1(VALU_DEP_2)
	v_cvt_f64_f32_e32 v[0:1], v6
	v_cvt_f64_f32_e32 v[4:5], v4
	s_delay_alu instid0(VALU_DEP_2) | instskip(NEXT) | instid1(VALU_DEP_2)
	v_mul_f64_e32 v[0:1], s[2:3], v[0:1]
	v_mul_f64_e32 v[4:5], s[2:3], v[4:5]
	s_delay_alu instid0(VALU_DEP_2) | instskip(NEXT) | instid1(VALU_DEP_2)
	v_cvt_f32_f64_e32 v0, v[0:1]
	v_cvt_f32_f64_e32 v1, v[4:5]
	global_store_b64 v[2:3], v[0:1], off
.LBB0_15:
	s_nop 0
	s_sendmsg sendmsg(MSG_DEALLOC_VGPRS)
	s_endpgm
	.section	.rodata,"a",@progbits
	.p2align	6, 0x0
	.amdhsa_kernel bluestein_single_back_len825_dim1_sp_op_CI_CI
		.amdhsa_group_segment_fixed_size 6600
		.amdhsa_private_segment_fixed_size 0
		.amdhsa_kernarg_size 104
		.amdhsa_user_sgpr_count 2
		.amdhsa_user_sgpr_dispatch_ptr 0
		.amdhsa_user_sgpr_queue_ptr 0
		.amdhsa_user_sgpr_kernarg_segment_ptr 1
		.amdhsa_user_sgpr_dispatch_id 0
		.amdhsa_user_sgpr_private_segment_size 0
		.amdhsa_wavefront_size32 1
		.amdhsa_uses_dynamic_stack 0
		.amdhsa_enable_private_segment 0
		.amdhsa_system_sgpr_workgroup_id_x 1
		.amdhsa_system_sgpr_workgroup_id_y 0
		.amdhsa_system_sgpr_workgroup_id_z 0
		.amdhsa_system_sgpr_workgroup_info 0
		.amdhsa_system_vgpr_workitem_id 0
		.amdhsa_next_free_vgpr 189
		.amdhsa_next_free_sgpr 16
		.amdhsa_reserve_vcc 1
		.amdhsa_float_round_mode_32 0
		.amdhsa_float_round_mode_16_64 0
		.amdhsa_float_denorm_mode_32 3
		.amdhsa_float_denorm_mode_16_64 3
		.amdhsa_fp16_overflow 0
		.amdhsa_workgroup_processor_mode 1
		.amdhsa_memory_ordered 1
		.amdhsa_forward_progress 0
		.amdhsa_round_robin_scheduling 0
		.amdhsa_exception_fp_ieee_invalid_op 0
		.amdhsa_exception_fp_denorm_src 0
		.amdhsa_exception_fp_ieee_div_zero 0
		.amdhsa_exception_fp_ieee_overflow 0
		.amdhsa_exception_fp_ieee_underflow 0
		.amdhsa_exception_fp_ieee_inexact 0
		.amdhsa_exception_int_div_zero 0
	.end_amdhsa_kernel
	.text
.Lfunc_end0:
	.size	bluestein_single_back_len825_dim1_sp_op_CI_CI, .Lfunc_end0-bluestein_single_back_len825_dim1_sp_op_CI_CI
                                        ; -- End function
	.section	.AMDGPU.csdata,"",@progbits
; Kernel info:
; codeLenInByte = 22796
; NumSgprs: 18
; NumVgprs: 189
; ScratchSize: 0
; MemoryBound: 0
; FloatMode: 240
; IeeeMode: 1
; LDSByteSize: 6600 bytes/workgroup (compile time only)
; SGPRBlocks: 2
; VGPRBlocks: 23
; NumSGPRsForWavesPerEU: 18
; NumVGPRsForWavesPerEU: 189
; Occupancy: 8
; WaveLimiterHint : 1
; COMPUTE_PGM_RSRC2:SCRATCH_EN: 0
; COMPUTE_PGM_RSRC2:USER_SGPR: 2
; COMPUTE_PGM_RSRC2:TRAP_HANDLER: 0
; COMPUTE_PGM_RSRC2:TGID_X_EN: 1
; COMPUTE_PGM_RSRC2:TGID_Y_EN: 0
; COMPUTE_PGM_RSRC2:TGID_Z_EN: 0
; COMPUTE_PGM_RSRC2:TIDIG_COMP_CNT: 0
	.text
	.p2alignl 7, 3214868480
	.fill 96, 4, 3214868480
	.type	__hip_cuid_6dface2e5e58f533,@object ; @__hip_cuid_6dface2e5e58f533
	.section	.bss,"aw",@nobits
	.globl	__hip_cuid_6dface2e5e58f533
__hip_cuid_6dface2e5e58f533:
	.byte	0                               ; 0x0
	.size	__hip_cuid_6dface2e5e58f533, 1

	.ident	"AMD clang version 19.0.0git (https://github.com/RadeonOpenCompute/llvm-project roc-6.4.0 25133 c7fe45cf4b819c5991fe208aaa96edf142730f1d)"
	.section	".note.GNU-stack","",@progbits
	.addrsig
	.addrsig_sym __hip_cuid_6dface2e5e58f533
	.amdgpu_metadata
---
amdhsa.kernels:
  - .args:
      - .actual_access:  read_only
        .address_space:  global
        .offset:         0
        .size:           8
        .value_kind:     global_buffer
      - .actual_access:  read_only
        .address_space:  global
        .offset:         8
        .size:           8
        .value_kind:     global_buffer
      - .actual_access:  read_only
        .address_space:  global
        .offset:         16
        .size:           8
        .value_kind:     global_buffer
      - .actual_access:  read_only
        .address_space:  global
        .offset:         24
        .size:           8
        .value_kind:     global_buffer
      - .actual_access:  read_only
        .address_space:  global
        .offset:         32
        .size:           8
        .value_kind:     global_buffer
      - .offset:         40
        .size:           8
        .value_kind:     by_value
      - .address_space:  global
        .offset:         48
        .size:           8
        .value_kind:     global_buffer
      - .address_space:  global
        .offset:         56
        .size:           8
        .value_kind:     global_buffer
      - .address_space:  global
        .offset:         64
        .size:           8
        .value_kind:     global_buffer
      - .address_space:  global
        .offset:         72
        .size:           8
        .value_kind:     global_buffer
      - .offset:         80
        .size:           4
        .value_kind:     by_value
      - .address_space:  global
        .offset:         88
        .size:           8
        .value_kind:     global_buffer
      - .address_space:  global
        .offset:         96
        .size:           8
        .value_kind:     global_buffer
    .group_segment_fixed_size: 6600
    .kernarg_segment_align: 8
    .kernarg_segment_size: 104
    .language:       OpenCL C
    .language_version:
      - 2
      - 0
    .max_flat_workgroup_size: 55
    .name:           bluestein_single_back_len825_dim1_sp_op_CI_CI
    .private_segment_fixed_size: 0
    .sgpr_count:     18
    .sgpr_spill_count: 0
    .symbol:         bluestein_single_back_len825_dim1_sp_op_CI_CI.kd
    .uniform_work_group_size: 1
    .uses_dynamic_stack: false
    .vgpr_count:     189
    .vgpr_spill_count: 0
    .wavefront_size: 32
    .workgroup_processor_mode: 1
amdhsa.target:   amdgcn-amd-amdhsa--gfx1201
amdhsa.version:
  - 1
  - 2
...

	.end_amdgpu_metadata
